;; amdgpu-corpus repo=ROCm/rocFFT kind=compiled arch=gfx906 opt=O3
	.text
	.amdgcn_target "amdgcn-amd-amdhsa--gfx906"
	.amdhsa_code_object_version 6
	.protected	fft_rtc_fwd_len1820_factors_10_13_7_2_wgs_182_tpt_182_halfLds_dp_op_CI_CI_unitstride_sbrr_R2C_dirReg ; -- Begin function fft_rtc_fwd_len1820_factors_10_13_7_2_wgs_182_tpt_182_halfLds_dp_op_CI_CI_unitstride_sbrr_R2C_dirReg
	.globl	fft_rtc_fwd_len1820_factors_10_13_7_2_wgs_182_tpt_182_halfLds_dp_op_CI_CI_unitstride_sbrr_R2C_dirReg
	.p2align	8
	.type	fft_rtc_fwd_len1820_factors_10_13_7_2_wgs_182_tpt_182_halfLds_dp_op_CI_CI_unitstride_sbrr_R2C_dirReg,@function
fft_rtc_fwd_len1820_factors_10_13_7_2_wgs_182_tpt_182_halfLds_dp_op_CI_CI_unitstride_sbrr_R2C_dirReg: ; @fft_rtc_fwd_len1820_factors_10_13_7_2_wgs_182_tpt_182_halfLds_dp_op_CI_CI_unitstride_sbrr_R2C_dirReg
; %bb.0:
	s_load_dwordx4 s[8:11], s[4:5], 0x58
	s_load_dwordx4 s[12:15], s[4:5], 0x0
	;; [unrolled: 1-line block ×3, first 2 shown]
	v_mul_u32_u24_e32 v1, 0x169, v0
	v_add_u32_sdwa v5, s6, v1 dst_sel:DWORD dst_unused:UNUSED_PAD src0_sel:DWORD src1_sel:WORD_1
	v_mov_b32_e32 v3, 0
	s_waitcnt lgkmcnt(0)
	v_cmp_lt_u64_e64 s[0:1], s[14:15], 2
	v_mov_b32_e32 v1, 0
	v_mov_b32_e32 v6, v3
	s_and_b64 vcc, exec, s[0:1]
	v_mov_b32_e32 v2, 0
	s_cbranch_vccnz .LBB0_8
; %bb.1:
	s_load_dwordx2 s[0:1], s[4:5], 0x10
	s_add_u32 s2, s18, 8
	s_addc_u32 s3, s19, 0
	s_add_u32 s6, s16, 8
	v_mov_b32_e32 v1, 0
	s_addc_u32 s7, s17, 0
	v_mov_b32_e32 v2, 0
	s_waitcnt lgkmcnt(0)
	s_add_u32 s20, s0, 8
	v_mov_b32_e32 v57, v2
	s_addc_u32 s21, s1, 0
	s_mov_b64 s[22:23], 1
	v_mov_b32_e32 v56, v1
.LBB0_2:                                ; =>This Inner Loop Header: Depth=1
	s_load_dwordx2 s[24:25], s[20:21], 0x0
                                        ; implicit-def: $vgpr60_vgpr61
	s_waitcnt lgkmcnt(0)
	v_or_b32_e32 v4, s25, v6
	v_cmp_ne_u64_e32 vcc, 0, v[3:4]
	s_and_saveexec_b64 s[0:1], vcc
	s_xor_b64 s[26:27], exec, s[0:1]
	s_cbranch_execz .LBB0_4
; %bb.3:                                ;   in Loop: Header=BB0_2 Depth=1
	v_cvt_f32_u32_e32 v4, s24
	v_cvt_f32_u32_e32 v7, s25
	s_sub_u32 s0, 0, s24
	s_subb_u32 s1, 0, s25
	v_mac_f32_e32 v4, 0x4f800000, v7
	v_rcp_f32_e32 v4, v4
	v_mul_f32_e32 v4, 0x5f7ffffc, v4
	v_mul_f32_e32 v7, 0x2f800000, v4
	v_trunc_f32_e32 v7, v7
	v_mac_f32_e32 v4, 0xcf800000, v7
	v_cvt_u32_f32_e32 v7, v7
	v_cvt_u32_f32_e32 v4, v4
	v_mul_lo_u32 v8, s0, v7
	v_mul_hi_u32 v9, s0, v4
	v_mul_lo_u32 v11, s1, v4
	v_mul_lo_u32 v10, s0, v4
	v_add_u32_e32 v8, v9, v8
	v_add_u32_e32 v8, v8, v11
	v_mul_hi_u32 v9, v4, v10
	v_mul_lo_u32 v11, v4, v8
	v_mul_hi_u32 v13, v4, v8
	v_mul_hi_u32 v12, v7, v10
	v_mul_lo_u32 v10, v7, v10
	v_mul_hi_u32 v14, v7, v8
	v_add_co_u32_e32 v9, vcc, v9, v11
	v_addc_co_u32_e32 v11, vcc, 0, v13, vcc
	v_mul_lo_u32 v8, v7, v8
	v_add_co_u32_e32 v9, vcc, v9, v10
	v_addc_co_u32_e32 v9, vcc, v11, v12, vcc
	v_addc_co_u32_e32 v10, vcc, 0, v14, vcc
	v_add_co_u32_e32 v8, vcc, v9, v8
	v_addc_co_u32_e32 v9, vcc, 0, v10, vcc
	v_add_co_u32_e32 v4, vcc, v4, v8
	v_addc_co_u32_e32 v7, vcc, v7, v9, vcc
	v_mul_lo_u32 v8, s0, v7
	v_mul_hi_u32 v9, s0, v4
	v_mul_lo_u32 v10, s1, v4
	v_mul_lo_u32 v11, s0, v4
	v_add_u32_e32 v8, v9, v8
	v_add_u32_e32 v8, v8, v10
	v_mul_lo_u32 v12, v4, v8
	v_mul_hi_u32 v13, v4, v11
	v_mul_hi_u32 v14, v4, v8
	v_mul_hi_u32 v10, v7, v11
	v_mul_lo_u32 v11, v7, v11
	v_mul_hi_u32 v9, v7, v8
	v_add_co_u32_e32 v12, vcc, v13, v12
	v_addc_co_u32_e32 v13, vcc, 0, v14, vcc
	v_mul_lo_u32 v8, v7, v8
	v_add_co_u32_e32 v11, vcc, v12, v11
	v_addc_co_u32_e32 v10, vcc, v13, v10, vcc
	v_addc_co_u32_e32 v9, vcc, 0, v9, vcc
	v_add_co_u32_e32 v8, vcc, v10, v8
	v_addc_co_u32_e32 v9, vcc, 0, v9, vcc
	v_add_co_u32_e32 v4, vcc, v4, v8
	v_addc_co_u32_e32 v9, vcc, v7, v9, vcc
	v_mad_u64_u32 v[7:8], s[0:1], v5, v9, 0
	v_mul_hi_u32 v10, v5, v4
	v_add_co_u32_e32 v11, vcc, v10, v7
	v_addc_co_u32_e32 v12, vcc, 0, v8, vcc
	v_mad_u64_u32 v[7:8], s[0:1], v6, v4, 0
	v_mad_u64_u32 v[9:10], s[0:1], v6, v9, 0
	v_add_co_u32_e32 v4, vcc, v11, v7
	v_addc_co_u32_e32 v4, vcc, v12, v8, vcc
	v_addc_co_u32_e32 v7, vcc, 0, v10, vcc
	v_add_co_u32_e32 v4, vcc, v4, v9
	v_addc_co_u32_e32 v9, vcc, 0, v7, vcc
	v_mul_lo_u32 v10, s25, v4
	v_mul_lo_u32 v11, s24, v9
	v_mad_u64_u32 v[7:8], s[0:1], s24, v4, 0
	v_add3_u32 v8, v8, v11, v10
	v_sub_u32_e32 v10, v6, v8
	v_mov_b32_e32 v11, s25
	v_sub_co_u32_e32 v7, vcc, v5, v7
	v_subb_co_u32_e64 v10, s[0:1], v10, v11, vcc
	v_subrev_co_u32_e64 v11, s[0:1], s24, v7
	v_subbrev_co_u32_e64 v10, s[0:1], 0, v10, s[0:1]
	v_cmp_le_u32_e64 s[0:1], s25, v10
	v_cndmask_b32_e64 v12, 0, -1, s[0:1]
	v_cmp_le_u32_e64 s[0:1], s24, v11
	v_cndmask_b32_e64 v11, 0, -1, s[0:1]
	v_cmp_eq_u32_e64 s[0:1], s25, v10
	v_cndmask_b32_e64 v10, v12, v11, s[0:1]
	v_add_co_u32_e64 v11, s[0:1], 2, v4
	v_addc_co_u32_e64 v12, s[0:1], 0, v9, s[0:1]
	v_add_co_u32_e64 v13, s[0:1], 1, v4
	v_addc_co_u32_e64 v14, s[0:1], 0, v9, s[0:1]
	v_subb_co_u32_e32 v8, vcc, v6, v8, vcc
	v_cmp_ne_u32_e64 s[0:1], 0, v10
	v_cmp_le_u32_e32 vcc, s25, v8
	v_cndmask_b32_e64 v10, v14, v12, s[0:1]
	v_cndmask_b32_e64 v12, 0, -1, vcc
	v_cmp_le_u32_e32 vcc, s24, v7
	v_cndmask_b32_e64 v7, 0, -1, vcc
	v_cmp_eq_u32_e32 vcc, s25, v8
	v_cndmask_b32_e32 v7, v12, v7, vcc
	v_cmp_ne_u32_e32 vcc, 0, v7
	v_cndmask_b32_e64 v7, v13, v11, s[0:1]
	v_cndmask_b32_e32 v61, v9, v10, vcc
	v_cndmask_b32_e32 v60, v4, v7, vcc
.LBB0_4:                                ;   in Loop: Header=BB0_2 Depth=1
	s_andn2_saveexec_b64 s[0:1], s[26:27]
	s_cbranch_execz .LBB0_6
; %bb.5:                                ;   in Loop: Header=BB0_2 Depth=1
	v_cvt_f32_u32_e32 v4, s24
	s_sub_i32 s26, 0, s24
	v_mov_b32_e32 v61, v3
	v_rcp_iflag_f32_e32 v4, v4
	v_mul_f32_e32 v4, 0x4f7ffffe, v4
	v_cvt_u32_f32_e32 v4, v4
	v_mul_lo_u32 v7, s26, v4
	v_mul_hi_u32 v7, v4, v7
	v_add_u32_e32 v4, v4, v7
	v_mul_hi_u32 v4, v5, v4
	v_mul_lo_u32 v7, v4, s24
	v_add_u32_e32 v8, 1, v4
	v_sub_u32_e32 v7, v5, v7
	v_subrev_u32_e32 v9, s24, v7
	v_cmp_le_u32_e32 vcc, s24, v7
	v_cndmask_b32_e32 v7, v7, v9, vcc
	v_cndmask_b32_e32 v4, v4, v8, vcc
	v_add_u32_e32 v8, 1, v4
	v_cmp_le_u32_e32 vcc, s24, v7
	v_cndmask_b32_e32 v60, v4, v8, vcc
.LBB0_6:                                ;   in Loop: Header=BB0_2 Depth=1
	s_or_b64 exec, exec, s[0:1]
	v_mul_lo_u32 v4, v61, s24
	v_mul_lo_u32 v9, v60, s25
	v_mad_u64_u32 v[7:8], s[0:1], v60, s24, 0
	s_load_dwordx2 s[0:1], s[6:7], 0x0
	s_load_dwordx2 s[24:25], s[2:3], 0x0
	v_add3_u32 v4, v8, v9, v4
	v_sub_co_u32_e32 v5, vcc, v5, v7
	v_subb_co_u32_e32 v4, vcc, v6, v4, vcc
	s_waitcnt lgkmcnt(0)
	v_mul_lo_u32 v6, s0, v4
	v_mul_lo_u32 v7, s1, v5
	v_mad_u64_u32 v[1:2], s[0:1], s0, v5, v[1:2]
	v_mul_lo_u32 v4, s24, v4
	v_mul_lo_u32 v8, s25, v5
	v_mad_u64_u32 v[56:57], s[0:1], s24, v5, v[56:57]
	s_add_u32 s22, s22, 1
	s_addc_u32 s23, s23, 0
	s_add_u32 s2, s2, 8
	v_add3_u32 v57, v8, v57, v4
	s_addc_u32 s3, s3, 0
	v_mov_b32_e32 v4, s14
	s_add_u32 s6, s6, 8
	v_mov_b32_e32 v5, s15
	s_addc_u32 s7, s7, 0
	v_cmp_ge_u64_e32 vcc, s[22:23], v[4:5]
	s_add_u32 s20, s20, 8
	v_add3_u32 v2, v7, v2, v6
	s_addc_u32 s21, s21, 0
	s_cbranch_vccnz .LBB0_9
; %bb.7:                                ;   in Loop: Header=BB0_2 Depth=1
	v_mov_b32_e32 v5, v60
	v_mov_b32_e32 v6, v61
	s_branch .LBB0_2
.LBB0_8:
	v_mov_b32_e32 v57, v2
	v_mov_b32_e32 v61, v6
	;; [unrolled: 1-line block ×4, first 2 shown]
.LBB0_9:
	s_load_dwordx2 s[4:5], s[4:5], 0x28
	s_lshl_b64 s[6:7], s[14:15], 3
	s_add_u32 s2, s18, s6
	s_addc_u32 s3, s19, s7
                                        ; implicit-def: $vgpr58
	s_waitcnt lgkmcnt(0)
	v_cmp_gt_u64_e64 s[0:1], s[4:5], v[60:61]
	v_cmp_le_u64_e32 vcc, s[4:5], v[60:61]
	s_and_saveexec_b64 s[4:5], vcc
	s_xor_b64 s[4:5], exec, s[4:5]
; %bb.10:
	s_mov_b32 s14, 0x1681682
	v_mul_hi_u32 v1, v0, s14
	v_mul_u32_u24_e32 v1, 0xb6, v1
	v_sub_u32_e32 v58, v0, v1
                                        ; implicit-def: $vgpr0
                                        ; implicit-def: $vgpr1_vgpr2
; %bb.11:
	s_andn2_saveexec_b64 s[4:5], s[4:5]
	s_cbranch_execz .LBB0_13
; %bb.12:
	s_add_u32 s6, s16, s6
	s_addc_u32 s7, s17, s7
	s_load_dwordx2 s[6:7], s[6:7], 0x0
	s_mov_b32 s14, 0x1681682
	v_mul_hi_u32 v5, v0, s14
	s_waitcnt lgkmcnt(0)
	v_mul_lo_u32 v6, s7, v60
	v_mul_lo_u32 v7, s6, v61
	v_mad_u64_u32 v[3:4], s[6:7], s6, v60, 0
	v_mul_u32_u24_e32 v5, 0xb6, v5
	v_sub_u32_e32 v58, v0, v5
	v_add3_u32 v4, v4, v7, v6
	v_lshlrev_b64 v[3:4], 4, v[3:4]
	v_mov_b32_e32 v0, s9
	v_add_co_u32_e32 v3, vcc, s8, v3
	v_addc_co_u32_e32 v4, vcc, v0, v4, vcc
	v_lshlrev_b64 v[0:1], 4, v[1:2]
	v_lshlrev_b32_e32 v44, 4, v58
	v_add_co_u32_e32 v0, vcc, v3, v0
	v_addc_co_u32_e32 v1, vcc, v4, v1, vcc
	v_add_co_u32_e32 v32, vcc, v0, v44
	v_addc_co_u32_e32 v33, vcc, 0, v1, vcc
	s_movk_i32 s6, 0x1000
	v_add_co_u32_e32 v16, vcc, s6, v32
	v_addc_co_u32_e32 v17, vcc, 0, v33, vcc
	s_movk_i32 s6, 0x2000
	;; [unrolled: 3-line block ×4, first 2 shown]
	v_add_co_u32_e32 v34, vcc, s6, v32
	v_addc_co_u32_e32 v35, vcc, 0, v33, vcc
	v_add_co_u32_e32 v40, vcc, 0x5000, v32
	v_addc_co_u32_e32 v41, vcc, 0, v33, vcc
	v_add_co_u32_e32 v42, vcc, 0x6000, v32
	global_load_dwordx4 v[0:3], v[32:33], off
	global_load_dwordx4 v[4:7], v[32:33], off offset:2912
	global_load_dwordx4 v[8:11], v[16:17], off offset:1728
	;; [unrolled: 1-line block ×3, first 2 shown]
	s_nop 0
	global_load_dwordx4 v[16:19], v[24:25], off offset:3456
	global_load_dwordx4 v[20:23], v[26:27], off offset:2272
	s_nop 0
	global_load_dwordx4 v[24:27], v[34:35], off offset:1088
	global_load_dwordx4 v[28:31], v[34:35], off offset:4000
	v_addc_co_u32_e32 v43, vcc, 0, v33, vcc
	global_load_dwordx4 v[32:35], v[40:41], off offset:2816
	global_load_dwordx4 v[36:39], v[42:43], off offset:1632
	v_add_u32_e32 v40, 0, v44
	s_waitcnt vmcnt(9)
	ds_write_b128 v40, v[0:3]
	s_waitcnt vmcnt(8)
	ds_write_b128 v40, v[4:7] offset:2912
	s_waitcnt vmcnt(7)
	ds_write_b128 v40, v[8:11] offset:5824
	;; [unrolled: 2-line block ×9, first 2 shown]
.LBB0_13:
	s_or_b64 exec, exec, s[4:5]
	v_lshl_add_u32 v250, v58, 4, 0
	s_load_dwordx2 s[4:5], s[2:3], 0x0
	s_waitcnt lgkmcnt(0)
	s_barrier
	ds_read_b128 v[0:3], v250
	ds_read_b128 v[4:7], v250 offset:2912
	ds_read_b128 v[8:11], v250 offset:5824
	;; [unrolled: 1-line block ×6, first 2 shown]
	s_waitcnt lgkmcnt(4)
	v_add_f64 v[40:41], v[0:1], v[8:9]
	ds_read_b128 v[28:31], v250 offset:20384
	ds_read_b128 v[32:35], v250 offset:23296
	;; [unrolled: 1-line block ×3, first 2 shown]
	s_waitcnt lgkmcnt(5)
	v_add_f64 v[42:43], v[12:13], v[16:17]
	v_add_f64 v[50:51], v[8:9], -v[12:13]
	v_add_f64 v[48:49], v[14:15], -v[18:19]
	s_waitcnt lgkmcnt(1)
	v_add_f64 v[52:53], v[32:33], -v[16:17]
	v_add_f64 v[54:55], v[8:9], v[32:33]
	v_add_f64 v[40:41], v[40:41], v[12:13]
	v_add_f64 v[44:45], v[10:11], -v[34:35]
	s_mov_b32 s2, 0x134454ff
	v_fma_f64 v[42:43], v[42:43], -0.5, v[0:1]
	s_mov_b32 s3, 0x3fee6f0e
	s_mov_b32 s15, 0xbfee6f0e
	v_add_f64 v[50:51], v[50:51], v[52:53]
	v_fma_f64 v[0:1], v[54:55], -0.5, v[0:1]
	v_add_f64 v[40:41], v[40:41], v[16:17]
	v_add_f64 v[52:53], v[14:15], v[18:19]
	s_mov_b32 s14, s2
	v_fma_f64 v[46:47], v[44:45], s[2:3], v[42:43]
	v_fma_f64 v[42:43], v[44:45], s[14:15], v[42:43]
	v_add_f64 v[62:63], v[2:3], v[10:11]
	v_add_f64 v[64:65], v[8:9], -v[32:33]
	v_fma_f64 v[54:55], v[48:49], s[14:15], v[0:1]
	v_add_f64 v[40:41], v[40:41], v[32:33]
	v_fma_f64 v[52:53], v[52:53], -0.5, v[2:3]
	v_add_f64 v[8:9], v[12:13], -v[8:9]
	v_add_f64 v[32:33], v[16:17], -v[32:33]
	v_fma_f64 v[0:1], v[48:49], s[2:3], v[0:1]
	s_mov_b32 s6, 0x4755a5e
	s_mov_b32 s7, 0x3fe2cf23
	s_mov_b32 s17, 0xbfe2cf23
	s_mov_b32 s16, s6
	v_fma_f64 v[46:47], v[48:49], s[6:7], v[46:47]
	v_fma_f64 v[42:43], v[48:49], s[16:17], v[42:43]
	v_add_f64 v[48:49], v[62:63], v[14:15]
	v_fma_f64 v[62:63], v[64:65], s[14:15], v[52:53]
	v_add_f64 v[12:13], v[12:13], -v[16:17]
	v_add_f64 v[16:17], v[10:11], -v[14:15]
	;; [unrolled: 1-line block ×3, first 2 shown]
	v_add_f64 v[8:9], v[8:9], v[32:33]
	v_fma_f64 v[0:1], v[44:45], s[16:17], v[0:1]
	s_mov_b32 s8, 0x372fe950
	s_mov_b32 s9, 0x3fd3c6ef
	v_fma_f64 v[46:47], v[50:51], s[8:9], v[46:47]
	v_fma_f64 v[54:55], v[44:45], s[6:7], v[54:55]
	v_add_f64 v[32:33], v[10:11], v[34:35]
	v_add_f64 v[44:45], v[48:49], v[18:19]
	v_fma_f64 v[42:43], v[50:51], s[8:9], v[42:43]
	v_add_f64 v[48:49], v[24:25], v[28:29]
	v_fma_f64 v[50:51], v[12:13], s[16:17], v[62:63]
	;; [unrolled: 2-line block ×4, first 2 shown]
	v_fma_f64 v[2:3], v[32:33], -0.5, v[2:3]
	s_waitcnt lgkmcnt(0)
	v_add_f64 v[32:33], v[22:23], -v[38:39]
	v_fma_f64 v[8:9], v[48:49], -0.5, v[4:5]
	v_add_f64 v[44:45], v[44:45], v[34:35]
	v_fma_f64 v[48:49], v[16:17], s[8:9], v[50:51]
	v_fma_f64 v[50:51], v[64:65], s[2:3], v[52:53]
	v_add_f64 v[0:1], v[0:1], v[24:25]
	v_add_f64 v[10:11], v[14:15], -v[10:11]
	v_fma_f64 v[52:53], v[12:13], s[2:3], v[2:3]
	v_add_f64 v[14:15], v[18:19], -v[34:35]
	v_fma_f64 v[2:3], v[12:13], s[14:15], v[2:3]
	v_fma_f64 v[18:19], v[32:33], s[2:3], v[8:9]
	v_add_f64 v[34:35], v[26:27], -v[30:31]
	v_add_f64 v[66:67], v[20:21], -v[24:25]
	;; [unrolled: 1-line block ×3, first 2 shown]
	v_fma_f64 v[12:13], v[12:13], s[6:7], v[50:51]
	v_add_f64 v[50:51], v[20:21], v[36:37]
	v_add_f64 v[0:1], v[0:1], v[28:29]
	v_fma_f64 v[52:53], v[64:65], s[16:17], v[52:53]
	v_add_f64 v[10:11], v[10:11], v[14:15]
	v_fma_f64 v[2:3], v[64:65], s[6:7], v[2:3]
	v_fma_f64 v[14:15], v[34:35], s[6:7], v[18:19]
	v_add_f64 v[18:19], v[66:67], v[68:69]
	v_fma_f64 v[64:65], v[16:17], s[8:9], v[12:13]
	v_fma_f64 v[4:5], v[50:51], -0.5, v[4:5]
	v_add_f64 v[12:13], v[26:27], v[30:31]
	v_add_f64 v[66:67], v[0:1], v[36:37]
	;; [unrolled: 1-line block ×3, first 2 shown]
	v_fma_f64 v[8:9], v[32:33], s[14:15], v[8:9]
	v_fma_f64 v[50:51], v[10:11], s[8:9], v[52:53]
	;; [unrolled: 1-line block ×5, first 2 shown]
	v_fma_f64 v[12:13], v[12:13], -0.5, v[6:7]
	v_add_f64 v[14:15], v[20:21], -v[36:37]
	v_add_f64 v[16:17], v[24:25], -v[20:21]
	;; [unrolled: 1-line block ×4, first 2 shown]
	v_fma_f64 v[0:1], v[0:1], -0.5, v[6:7]
	v_fma_f64 v[4:5], v[34:35], s[2:3], v[4:5]
	v_add_f64 v[6:7], v[6:7], v[22:23]
	v_fma_f64 v[8:9], v[34:35], s[16:17], v[8:9]
	v_fma_f64 v[10:11], v[32:33], s[6:7], v[10:11]
	;; [unrolled: 1-line block ×3, first 2 shown]
	v_add_f64 v[34:35], v[22:23], -v[26:27]
	v_add_f64 v[36:37], v[38:39], -v[30:31]
	v_add_f64 v[16:17], v[16:17], v[20:21]
	v_fma_f64 v[20:21], v[24:25], s[2:3], v[0:1]
	v_add_f64 v[22:23], v[26:27], -v[22:23]
	v_add_f64 v[68:69], v[30:31], -v[38:39]
	v_fma_f64 v[4:5], v[32:33], s[16:17], v[4:5]
	v_add_f64 v[6:7], v[6:7], v[26:27]
	v_fma_f64 v[12:13], v[14:15], s[2:3], v[12:13]
	v_fma_f64 v[0:1], v[24:25], s[14:15], v[0:1]
	;; [unrolled: 1-line block ×3, first 2 shown]
	v_add_f64 v[28:29], v[34:35], v[36:37]
	v_fma_f64 v[20:21], v[14:15], s[16:17], v[20:21]
	v_add_f64 v[22:23], v[22:23], v[68:69]
	v_fma_f64 v[10:11], v[16:17], s[8:9], v[10:11]
	v_fma_f64 v[16:17], v[16:17], s[8:9], v[4:5]
	v_add_f64 v[4:5], v[6:7], v[30:31]
	v_fma_f64 v[6:7], v[24:25], s[6:7], v[12:13]
	v_fma_f64 v[0:1], v[14:15], s[6:7], v[0:1]
	s_mov_b32 s18, 0x9b97f4a8
	s_mov_b32 s19, 0x3fe9e377
	v_fma_f64 v[8:9], v[18:19], s[8:9], v[8:9]
	v_fma_f64 v[12:13], v[28:29], s[8:9], v[26:27]
	;; [unrolled: 1-line block ×3, first 2 shown]
	v_mul_f64 v[18:19], v[2:3], s[18:19]
	v_add_f64 v[26:27], v[4:5], v[38:39]
	v_fma_f64 v[4:5], v[28:29], s[8:9], v[6:7]
	v_fma_f64 v[6:7], v[22:23], s[8:9], v[0:1]
	v_mul_f64 v[22:23], v[16:17], s[8:9]
	v_mul_f64 v[24:25], v[8:9], s[18:19]
	;; [unrolled: 1-line block ×4, first 2 shown]
	v_fma_f64 v[28:29], v[12:13], s[6:7], v[18:19]
	v_mul_f64 v[18:19], v[10:11], s[14:15]
	v_mul_f64 v[32:33], v[4:5], s[18:19]
	;; [unrolled: 1-line block ×3, first 2 shown]
	v_fma_f64 v[22:23], v[6:7], s[2:3], -v[22:23]
	v_fma_f64 v[34:35], v[4:5], s[6:7], -v[24:25]
	v_fma_f64 v[38:39], v[12:13], s[18:19], v[2:3]
	v_fma_f64 v[20:21], v[10:11], s[8:9], v[20:21]
	v_add_f64 v[0:1], v[40:41], v[66:67]
	v_fma_f64 v[68:69], v[14:15], s[8:9], v[18:19]
	v_fma_f64 v[72:73], v[8:9], s[16:17], -v[32:33]
	v_fma_f64 v[70:71], v[16:17], s[14:15], -v[30:31]
	v_add_f64 v[4:5], v[46:47], v[28:29]
	v_add_f64 v[12:13], v[62:63], v[22:23]
	;; [unrolled: 1-line block ×9, first 2 shown]
	v_add_f64 v[24:25], v[40:41], -v[66:67]
	v_add_f64 v[28:29], v[46:47], -v[28:29]
	;; [unrolled: 1-line block ×10, first 2 shown]
	s_movk_i32 s2, 0x90
	v_mad_u32_u24 v40, v58, s2, v250
	s_movk_i32 s2, 0x8c
	v_cmp_gt_u32_e32 vcc, s2, v58
	s_barrier
	ds_write_b128 v40, v[0:3]
	ds_write_b128 v40, v[4:7] offset:16
	ds_write_b128 v40, v[8:11] offset:32
	;; [unrolled: 1-line block ×9, first 2 shown]
	s_waitcnt lgkmcnt(0)
	s_barrier
	s_waitcnt lgkmcnt(0)
                                        ; implicit-def: $vgpr50_vgpr51
                                        ; implicit-def: $vgpr46_vgpr47
                                        ; implicit-def: $vgpr42_vgpr43
	s_and_saveexec_b64 s[2:3], vcc
	s_cbranch_execz .LBB0_15
; %bb.14:
	ds_read_b128 v[0:3], v250
	ds_read_b128 v[4:7], v250 offset:2240
	ds_read_b128 v[8:11], v250 offset:4480
	;; [unrolled: 1-line block ×12, first 2 shown]
.LBB0_15:
	s_or_b64 exec, exec, s[2:3]
	s_movk_i32 s2, 0xcd
	v_mul_lo_u16_sdwa v52, v58, s2 dst_sel:DWORD dst_unused:UNUSED_PAD src0_sel:BYTE_0 src1_sel:DWORD
	v_lshrrev_b16_e32 v59, 11, v52
	v_mul_lo_u16_e32 v52, 10, v59
	v_sub_u16_e32 v251, v58, v52
	v_mov_b32_e32 v52, 12
	v_mul_u32_u24_sdwa v52, v251, v52 dst_sel:DWORD dst_unused:UNUSED_PAD src0_sel:BYTE_0 src1_sel:DWORD
	v_lshlrev_b32_e32 v74, 4, v52
	global_load_dwordx4 v[52:55], v74, s[12:13]
	global_load_dwordx4 v[62:65], v74, s[12:13] offset:16
	global_load_dwordx4 v[66:69], v74, s[12:13] offset:32
	global_load_dwordx4 v[70:73], v74, s[12:13] offset:48
	global_load_dwordx4 v[84:87], v74, s[12:13] offset:64
	global_load_dwordx4 v[88:91], v74, s[12:13] offset:80
	global_load_dwordx4 v[94:97], v74, s[12:13] offset:96
	global_load_dwordx4 v[98:101], v74, s[12:13] offset:112
	global_load_dwordx4 v[102:105], v74, s[12:13] offset:176
	global_load_dwordx4 v[106:109], v74, s[12:13] offset:160
	global_load_dwordx4 v[110:113], v74, s[12:13] offset:128
	global_load_dwordx4 v[114:117], v74, s[12:13] offset:144
	s_mov_b32 s21, 0xbfddbe06
	s_mov_b32 s20, 0x4267c47c
	;; [unrolled: 1-line block ×30, first 2 shown]
	s_waitcnt vmcnt(0) lgkmcnt(0)
	s_barrier
	v_mul_f64 v[74:75], v[6:7], v[54:55]
	v_mul_f64 v[54:55], v[4:5], v[54:55]
	;; [unrolled: 1-line block ×6, first 2 shown]
	v_fma_f64 v[80:81], v[4:5], v[52:53], -v[74:75]
	v_fma_f64 v[92:93], v[6:7], v[52:53], v[54:55]
	v_mul_f64 v[4:5], v[18:19], v[72:73]
	v_mul_f64 v[6:7], v[16:17], v[72:73]
	;; [unrolled: 1-line block ×4, first 2 shown]
	v_fma_f64 v[76:77], v[8:9], v[62:63], -v[76:77]
	v_fma_f64 v[82:83], v[10:11], v[62:63], v[64:65]
	v_mul_f64 v[8:9], v[30:31], v[90:91]
	v_mul_f64 v[10:11], v[28:29], v[90:91]
	;; [unrolled: 1-line block ×6, first 2 shown]
	v_fma_f64 v[72:73], v[12:13], v[66:67], -v[78:79]
	v_fma_f64 v[78:79], v[14:15], v[66:67], v[68:69]
	v_fma_f64 v[68:69], v[16:17], v[70:71], -v[4:5]
	v_fma_f64 v[74:75], v[18:19], v[70:71], v[6:7]
	v_mul_f64 v[4:5], v[44:45], v[108:109]
	v_mul_f64 v[6:7], v[46:47], v[108:109]
	v_fma_f64 v[50:51], v[50:51], v[102:103], v[62:63]
	v_fma_f64 v[62:63], v[28:29], v[88:89], -v[8:9]
	v_fma_f64 v[28:29], v[48:49], v[102:103], -v[96:97]
	v_mul_f64 v[16:17], v[38:39], v[112:113]
	v_fma_f64 v[66:67], v[24:25], v[84:85], -v[52:53]
	v_fma_f64 v[70:71], v[26:27], v[84:85], v[54:55]
	v_mul_f64 v[24:25], v[42:43], v[116:117]
	v_mul_f64 v[26:27], v[40:41], v[116:117]
	v_fma_f64 v[64:65], v[30:31], v[88:89], v[10:11]
	v_fma_f64 v[52:53], v[32:33], v[94:95], -v[86:87]
	v_fma_f64 v[32:33], v[46:47], v[106:107], v[4:5]
	v_fma_f64 v[30:31], v[44:45], v[106:107], -v[6:7]
	v_add_f64 v[190:191], v[92:93], -v[50:51]
	v_add_f64 v[186:187], v[80:81], -v[28:29]
	v_mul_f64 v[18:19], v[36:37], v[112:113]
	v_fma_f64 v[54:55], v[34:35], v[94:95], v[90:91]
	v_fma_f64 v[44:45], v[36:37], v[110:111], -v[16:17]
	v_fma_f64 v[34:35], v[40:41], v[114:115], -v[24:25]
	v_fma_f64 v[36:37], v[42:43], v[114:115], v[26:27]
	v_add_f64 v[114:115], v[80:81], v[28:29]
	v_add_f64 v[192:193], v[82:83], -v[32:33]
	v_mul_f64 v[40:41], v[190:191], s[20:21]
	v_add_f64 v[116:117], v[92:93], v[50:51]
	v_add_f64 v[188:189], v[76:77], -v[30:31]
	v_mul_f64 v[90:91], v[186:187], s[20:21]
	v_mul_f64 v[14:15], v[20:21], v[100:101]
	v_fma_f64 v[38:39], v[38:39], v[110:111], v[18:19]
	v_add_f64 v[112:113], v[76:77], v[30:31]
	v_add_f64 v[110:111], v[82:83], v[32:33]
	v_add_f64 v[180:181], v[78:79], -v[36:37]
	v_mul_f64 v[46:47], v[192:193], s[22:23]
	v_fma_f64 v[4:5], v[114:115], s[2:3], v[40:41]
	v_add_f64 v[178:179], v[72:73], -v[34:35]
	v_mul_f64 v[86:87], v[188:189], s[22:23]
	v_fma_f64 v[8:9], v[116:117], s[2:3], -v[90:91]
	v_mul_f64 v[12:13], v[22:23], v[100:101]
	v_add_f64 v[104:105], v[72:73], v[34:35]
	v_add_f64 v[108:109], v[78:79], v[36:37]
	v_add_f64 v[174:175], v[74:75], -v[38:39]
	v_fma_f64 v[6:7], v[112:113], s[6:7], v[46:47]
	v_add_f64 v[4:5], v[0:1], v[4:5]
	v_mul_f64 v[48:49], v[180:181], s[26:27]
	v_add_f64 v[176:177], v[68:69], -v[44:45]
	v_mul_f64 v[84:85], v[178:179], s[26:27]
	v_fma_f64 v[10:11], v[110:111], s[6:7], -v[86:87]
	v_add_f64 v[8:9], v[2:3], v[8:9]
	v_fma_f64 v[96:97], v[22:23], v[98:99], v[14:15]
	v_add_f64 v[102:103], v[68:69], v[44:45]
	v_mul_f64 v[42:43], v[174:175], s[24:25]
	v_add_f64 v[4:5], v[6:7], v[4:5]
	v_fma_f64 v[6:7], v[104:105], s[8:9], v[48:49]
	v_fma_f64 v[94:95], v[20:21], v[98:99], -v[12:13]
	v_add_f64 v[106:107], v[74:75], v[38:39]
	v_mul_f64 v[88:89], v[176:177], s[24:25]
	v_fma_f64 v[12:13], v[108:109], s[8:9], -v[84:85]
	v_add_f64 v[8:9], v[10:11], v[8:9]
	v_add_f64 v[20:21], v[70:71], -v[96:97]
	v_fma_f64 v[10:11], v[102:103], s[14:15], v[42:43]
	v_add_f64 v[4:5], v[6:7], v[4:5]
	v_add_f64 v[122:123], v[66:67], v[94:95]
	v_add_f64 v[22:23], v[66:67], -v[94:95]
	v_add_f64 v[128:129], v[70:71], v[96:97]
	v_add_f64 v[248:249], v[64:65], -v[54:55]
	v_add_f64 v[6:7], v[12:13], v[8:9]
	v_fma_f64 v[8:9], v[106:107], s[14:15], -v[88:89]
	v_mul_f64 v[98:99], v[20:21], s[28:29]
	v_add_f64 v[4:5], v[10:11], v[4:5]
	v_add_f64 v[148:149], v[62:63], v[52:53]
	v_mul_f64 v[100:101], v[22:23], s[28:29]
	v_add_f64 v[252:253], v[62:63], -v[52:53]
	v_mul_f64 v[118:119], v[248:249], s[30:31]
	v_add_f64 v[150:151], v[64:65], v[54:55]
	v_add_f64 v[6:7], v[8:9], v[6:7]
	v_fma_f64 v[8:9], v[122:123], s[16:17], v[98:99]
	v_mul_f64 v[124:125], v[190:191], s[22:23]
	v_mul_f64 v[126:127], v[192:193], s[24:25]
	;; [unrolled: 1-line block ×7, first 2 shown]
	v_add_f64 v[4:5], v[8:9], v[4:5]
	v_fma_f64 v[8:9], v[128:129], s[16:17], -v[100:101]
	v_fma_f64 v[10:11], v[112:113], s[14:15], v[126:127]
	v_mul_f64 v[132:133], v[174:175], s[36:37]
	v_mul_f64 v[142:143], v[176:177], s[36:37]
	v_fma_f64 v[12:13], v[110:111], s[14:15], -v[138:139]
	v_mul_f64 v[136:137], v[20:21], s[34:35]
	v_mul_f64 v[144:145], v[22:23], s[34:35]
	s_mov_b32 s21, 0x3fddbe06
	v_add_f64 v[6:7], v[8:9], v[6:7]
	v_fma_f64 v[8:9], v[148:149], s[18:19], v[118:119]
	v_mul_f64 v[134:135], v[248:249], s[20:21]
	v_mul_f64 v[146:147], v[252:253], s[20:21]
	;; [unrolled: 1-line block ×7, first 2 shown]
	v_add_f64 v[4:5], v[8:9], v[4:5]
	v_fma_f64 v[8:9], v[150:151], s[18:19], -v[120:121]
	v_mul_f64 v[164:165], v[178:179], s[38:39]
	v_mul_f64 v[160:161], v[174:175], s[20:21]
	v_fma_f64 v[14:15], v[112:113], s[18:19], v[154:155]
	v_mul_f64 v[168:169], v[176:177], s[20:21]
	v_fma_f64 v[16:17], v[110:111], s[18:19], -v[184:185]
	v_mul_f64 v[162:163], v[20:21], s[22:23]
	v_mul_f64 v[172:173], v[22:23], s[22:23]
	v_add_f64 v[6:7], v[8:9], v[6:7]
	v_fma_f64 v[8:9], v[114:115], s[6:7], v[124:125]
	v_mul_f64 v[166:167], v[248:249], s[28:29]
	v_mul_f64 v[170:171], v[252:253], s[28:29]
	;; [unrolled: 1-line block ×7, first 2 shown]
	v_add_f64 v[8:9], v[0:1], v[8:9]
	v_mul_f64 v[210:211], v[178:179], s[20:21]
	v_mul_f64 v[196:197], v[174:175], s[26:27]
	;; [unrolled: 1-line block ×3, first 2 shown]
	v_fma_f64 v[18:19], v[112:113], s[16:17], v[200:201]
	s_mov_b32 s37, 0x3fcea1e5
	v_fma_f64 v[24:25], v[110:111], s[16:17], -v[214:215]
	s_mov_b32 s36, s30
	v_add_f64 v[8:9], v[10:11], v[8:9]
	v_fma_f64 v[10:11], v[116:117], s[6:7], -v[152:153]
	v_mul_f64 v[198:199], v[20:21], s[36:37]
	v_mul_f64 v[202:203], v[22:23], s[36:37]
	s_mov_b32 s27, 0x3fea55e2
	s_mov_b32 s26, s22
	v_mul_f64 v[194:195], v[248:249], s[26:27]
	v_mul_f64 v[216:217], v[252:253], s[26:27]
	;; [unrolled: 1-line block ×3, first 2 shown]
	v_add_f64 v[10:11], v[2:3], v[10:11]
	v_mul_f64 v[218:219], v[192:193], s[34:35]
	v_mul_f64 v[238:239], v[186:187], s[28:29]
	;; [unrolled: 1-line block ×7, first 2 shown]
	v_add_f64 v[10:11], v[12:13], v[10:11]
	v_fma_f64 v[12:13], v[104:105], s[18:19], v[130:131]
	v_fma_f64 v[26:27], v[112:113], s[8:9], v[218:219]
	v_fma_f64 v[220:221], v[110:111], s[8:9], -v[240:241]
	v_add_f64 v[8:9], v[12:13], v[8:9]
	v_fma_f64 v[12:13], v[108:109], s[18:19], -v[140:141]
	v_add_f64 v[10:11], v[12:13], v[10:11]
	v_fma_f64 v[12:13], v[102:103], s[16:17], v[132:133]
	v_add_f64 v[8:9], v[12:13], v[8:9]
	v_fma_f64 v[12:13], v[106:107], s[16:17], -v[142:143]
	v_add_f64 v[10:11], v[12:13], v[10:11]
	v_fma_f64 v[12:13], v[122:123], s[8:9], v[136:137]
	;; [unrolled: 4-line block ×4, first 2 shown]
	v_add_f64 v[12:13], v[0:1], v[12:13]
	v_add_f64 v[12:13], v[14:15], v[12:13]
	v_fma_f64 v[14:15], v[116:117], s[8:9], -v[182:183]
	v_add_f64 v[14:15], v[2:3], v[14:15]
	v_add_f64 v[14:15], v[16:17], v[14:15]
	v_fma_f64 v[16:17], v[104:105], s[14:15], v[158:159]
	v_add_f64 v[12:13], v[16:17], v[12:13]
	v_fma_f64 v[16:17], v[108:109], s[14:15], -v[164:165]
	v_add_f64 v[14:15], v[16:17], v[14:15]
	v_fma_f64 v[16:17], v[102:103], s[2:3], v[160:161]
	v_add_f64 v[12:13], v[16:17], v[12:13]
	v_fma_f64 v[16:17], v[106:107], s[2:3], -v[168:169]
	;; [unrolled: 4-line block ×4, first 2 shown]
	v_add_f64 v[14:15], v[16:17], v[14:15]
	v_fma_f64 v[16:17], v[114:115], s[14:15], v[204:205]
	v_add_f64 v[16:17], v[0:1], v[16:17]
	v_add_f64 v[16:17], v[18:19], v[16:17]
	v_fma_f64 v[18:19], v[116:117], s[14:15], -v[208:209]
	v_add_f64 v[18:19], v[2:3], v[18:19]
	v_add_f64 v[18:19], v[24:25], v[18:19]
	v_fma_f64 v[24:25], v[104:105], s[2:3], v[206:207]
	v_add_f64 v[16:17], v[24:25], v[16:17]
	v_fma_f64 v[24:25], v[108:109], s[2:3], -v[210:211]
	v_add_f64 v[18:19], v[24:25], v[18:19]
	v_fma_f64 v[24:25], v[102:103], s[8:9], v[196:197]
	v_add_f64 v[16:17], v[24:25], v[16:17]
	v_fma_f64 v[24:25], v[106:107], s[8:9], -v[212:213]
	;; [unrolled: 4-line block ×4, first 2 shown]
	v_add_f64 v[18:19], v[24:25], v[18:19]
	v_fma_f64 v[24:25], v[114:115], s[16:17], v[228:229]
	v_add_f64 v[24:25], v[0:1], v[24:25]
	v_add_f64 v[24:25], v[26:27], v[24:25]
	v_fma_f64 v[26:27], v[116:117], s[16:17], -v[238:239]
	v_add_f64 v[26:27], v[2:3], v[26:27]
	v_add_f64 v[26:27], v[220:221], v[26:27]
	v_mul_f64 v[220:221], v[180:181], s[22:23]
	v_mul_f64 v[180:181], v[180:181], s[28:29]
	v_fma_f64 v[222:223], v[104:105], s[6:7], v[220:221]
	v_add_f64 v[24:25], v[222:223], v[24:25]
	v_fma_f64 v[222:223], v[108:109], s[6:7], -v[236:237]
	v_add_f64 v[26:27], v[222:223], v[26:27]
	v_mul_f64 v[222:223], v[174:175], s[36:37]
	v_mul_f64 v[174:175], v[174:175], s[26:27]
	v_fma_f64 v[224:225], v[102:103], s[18:19], v[222:223]
	v_add_f64 v[24:25], v[224:225], v[24:25]
	v_fma_f64 v[224:225], v[106:107], s[18:19], -v[230:231]
	v_add_f64 v[26:27], v[224:225], v[26:27]
	v_mul_f64 v[224:225], v[20:21], s[20:21]
	v_fma_f64 v[226:227], v[122:123], s[2:3], v[224:225]
	v_add_f64 v[24:25], v[226:227], v[24:25]
	v_fma_f64 v[226:227], v[128:129], s[2:3], -v[232:233]
	v_add_f64 v[26:27], v[226:227], v[26:27]
	v_mul_f64 v[226:227], v[248:249], s[24:25]
	v_fma_f64 v[234:235], v[148:149], s[14:15], v[226:227]
	v_add_f64 v[24:25], v[234:235], v[24:25]
	v_mul_f64 v[234:235], v[252:253], s[24:25]
	v_fma_f64 v[242:243], v[150:151], s[14:15], -v[234:235]
	v_add_f64 v[26:27], v[242:243], v[26:27]
	v_mul_f64 v[242:243], v[190:191], s[30:31]
	v_mul_f64 v[190:191], v[192:193], s[20:21]
	v_fma_f64 v[192:193], v[114:115], s[18:19], v[242:243]
	v_fma_f64 v[244:245], v[112:113], s[2:3], v[190:191]
	v_add_f64 v[192:193], v[0:1], v[192:193]
	v_add_f64 v[244:245], v[244:245], v[192:193]
	v_mul_f64 v[192:193], v[186:187], s[30:31]
	v_mul_f64 v[186:187], v[188:189], s[20:21]
	v_fma_f64 v[188:189], v[116:117], s[18:19], -v[192:193]
	v_fma_f64 v[246:247], v[110:111], s[2:3], -v[186:187]
	v_add_f64 v[188:189], v[2:3], v[188:189]
	v_add_f64 v[188:189], v[246:247], v[188:189]
	v_fma_f64 v[246:247], v[104:105], s[16:17], v[180:181]
	v_add_f64 v[244:245], v[246:247], v[244:245]
	v_fma_f64 v[246:247], v[108:109], s[16:17], -v[178:179]
	v_add_f64 v[188:189], v[246:247], v[188:189]
	v_fma_f64 v[246:247], v[102:103], s[6:7], v[174:175]
	v_add_f64 v[246:247], v[246:247], v[244:245]
	v_mul_f64 v[244:245], v[176:177], s[26:27]
	v_fma_f64 v[176:177], v[106:107], s[6:7], -v[244:245]
	v_add_f64 v[188:189], v[176:177], v[188:189]
	v_mul_f64 v[176:177], v[20:21], s[24:25]
	v_fma_f64 v[20:21], v[122:123], s[14:15], v[176:177]
	v_add_f64 v[20:21], v[20:21], v[246:247]
	v_mul_f64 v[246:247], v[22:23], s[24:25]
	v_fma_f64 v[22:23], v[128:129], s[14:15], -v[246:247]
	v_add_f64 v[22:23], v[22:23], v[188:189]
	v_mul_f64 v[188:189], v[248:249], s[34:35]
	v_mul_f64 v[248:249], v[252:253], s[34:35]
	v_fma_f64 v[252:253], v[148:149], s[8:9], v[188:189]
	v_add_f64 v[20:21], v[252:253], v[20:21]
	v_fma_f64 v[252:253], v[150:151], s[8:9], -v[248:249]
	v_add_f64 v[22:23], v[252:253], v[22:23]
	s_and_saveexec_b64 s[20:21], vcc
	s_cbranch_execz .LBB0_17
; %bb.16:
	v_mul_f64 v[252:253], v[150:151], s[8:9]
	v_add_f64 v[92:93], v[2:3], v[92:93]
	v_add_f64 v[80:81], v[0:1], v[80:81]
	v_mul_f64 v[254:255], v[106:107], s[2:3]
	v_add_f64 v[248:249], v[248:249], v[252:253]
	v_mul_f64 v[252:253], v[128:129], s[14:15]
	v_add_f64 v[82:83], v[92:93], v[82:83]
	v_add_f64 v[76:77], v[80:81], v[76:77]
	;; [unrolled: 1-line block ×4, first 2 shown]
	v_mul_f64 v[252:253], v[106:107], s[6:7]
	v_add_f64 v[78:79], v[82:83], v[78:79]
	v_add_f64 v[72:73], v[76:77], v[72:73]
	v_add_f64 v[244:245], v[244:245], v[252:253]
	v_mul_f64 v[252:253], v[116:117], s[18:19]
	v_add_f64 v[74:75], v[78:79], v[74:75]
	v_add_f64 v[68:69], v[72:73], v[68:69]
	v_add_f64 v[192:193], v[192:193], v[252:253]
	;; [unrolled: 4-line block ×3, first 2 shown]
	v_add_f64 v[242:243], v[252:253], -v[242:243]
	v_mul_f64 v[252:253], v[110:111], s[2:3]
	v_add_f64 v[64:65], v[70:71], v[64:65]
	v_add_f64 v[62:63], v[66:67], v[62:63]
	v_add_f64 v[186:187], v[186:187], v[252:253]
	v_mul_f64 v[252:253], v[108:109], s[16:17]
	v_add_f64 v[54:55], v[64:65], v[54:55]
	v_add_f64 v[52:53], v[62:63], v[52:53]
	;; [unrolled: 1-line block ×4, first 2 shown]
	v_mul_f64 v[252:253], v[112:113], s[2:3]
	v_add_f64 v[192:193], v[0:1], v[242:243]
	v_mul_f64 v[242:243], v[116:117], s[2:3]
	v_add_f64 v[54:55], v[54:55], v[96:97]
	v_add_f64 v[52:53], v[52:53], v[94:95]
	;; [unrolled: 1-line block ×3, first 2 shown]
	v_add_f64 v[190:191], v[252:253], -v[190:191]
	v_mul_f64 v[252:253], v[148:149], s[8:9]
	v_mul_f64 v[186:187], v[110:111], s[8:9]
	v_add_f64 v[90:91], v[90:91], v[242:243]
	v_add_f64 v[38:39], v[54:55], v[38:39]
	;; [unrolled: 1-line block ×5, first 2 shown]
	v_add_f64 v[188:189], v[252:253], -v[188:189]
	v_mul_f64 v[252:253], v[104:105], s[16:17]
	v_mul_f64 v[192:193], v[122:123], s[14:15]
	v_add_f64 v[186:187], v[240:241], v[186:187]
	v_mul_f64 v[244:245], v[104:105], s[6:7]
	v_mul_f64 v[240:241], v[114:115], s[2:3]
	v_add_f64 v[178:179], v[246:247], v[178:179]
	v_mul_f64 v[246:247], v[108:109], s[14:15]
	v_add_f64 v[36:37], v[38:39], v[36:37]
	v_add_f64 v[180:181], v[252:253], -v[180:181]
	v_add_f64 v[176:177], v[192:193], -v[176:177]
	v_mul_f64 v[192:193], v[102:103], s[6:7]
	v_add_f64 v[220:221], v[244:245], -v[220:221]
	v_mul_f64 v[244:245], v[102:103], s[18:19]
	v_add_f64 v[40:41], v[240:241], -v[40:41]
	v_add_f64 v[164:165], v[164:165], v[246:247]
	v_mul_f64 v[252:253], v[102:103], s[2:3]
	v_add_f64 v[180:181], v[180:181], v[190:191]
	v_mul_f64 v[190:191], v[114:115], s[16:17]
	v_add_f64 v[174:175], v[192:193], -v[174:175]
	v_mul_f64 v[192:193], v[116:117], s[16:17]
	v_add_f64 v[222:223], v[244:245], -v[222:223]
	v_mul_f64 v[244:245], v[110:111], s[6:7]
	v_add_f64 v[40:41], v[0:1], v[40:41]
	v_add_f64 v[78:79], v[252:253], -v[160:161]
	v_add_f64 v[34:35], v[44:45], v[34:35]
	v_add_f64 v[190:191], v[190:191], -v[228:229]
	v_mul_f64 v[228:229], v[112:113], s[8:9]
	v_add_f64 v[192:193], v[238:239], v[192:193]
	v_mul_f64 v[238:239], v[108:109], s[6:7]
	v_add_f64 v[174:175], v[174:175], v[180:181]
	;; [unrolled: 2-line block ×3, first 2 shown]
	v_add_f64 v[32:33], v[36:37], v[32:33]
	v_add_f64 v[190:191], v[0:1], v[190:191]
	v_add_f64 v[218:219], v[228:229], -v[218:219]
	v_add_f64 v[192:193], v[2:3], v[192:193]
	v_add_f64 v[236:237], v[236:237], v[238:239]
	v_mul_f64 v[228:229], v[106:107], s[18:19]
	v_mul_f64 v[238:239], v[116:117], s[6:7]
	v_add_f64 v[174:175], v[176:177], v[174:175]
	v_mul_f64 v[176:177], v[114:115], s[8:9]
	v_mul_f64 v[114:115], v[114:115], s[14:15]
	v_add_f64 v[190:191], v[218:219], v[190:191]
	v_add_f64 v[186:187], v[186:187], v[192:193]
	v_mul_f64 v[192:193], v[116:117], s[8:9]
	v_mul_f64 v[116:117], v[116:117], s[14:15]
	v_add_f64 v[218:219], v[230:231], v[228:229]
	v_mul_f64 v[228:229], v[128:129], s[2:3]
	v_mul_f64 v[230:231], v[112:113], s[6:7]
	v_add_f64 v[152:153], v[152:153], v[238:239]
	v_add_f64 v[190:191], v[220:221], v[190:191]
	;; [unrolled: 1-line block ×3, first 2 shown]
	v_mul_f64 v[220:221], v[150:151], s[14:15]
	v_mul_f64 v[236:237], v[122:123], s[2:3]
	v_add_f64 v[116:117], v[208:209], v[116:117]
	v_add_f64 v[228:229], v[232:233], v[228:229]
	v_mul_f64 v[208:209], v[108:109], s[2:3]
	v_add_f64 v[182:183], v[182:183], v[192:193]
	v_add_f64 v[190:191], v[222:223], v[190:191]
	;; [unrolled: 1-line block ×3, first 2 shown]
	v_mul_f64 v[218:219], v[110:111], s[14:15]
	v_add_f64 v[220:221], v[234:235], v[220:221]
	v_mul_f64 v[234:235], v[110:111], s[18:19]
	v_mul_f64 v[110:111], v[110:111], s[16:17]
	v_add_f64 v[224:225], v[236:237], -v[224:225]
	v_mul_f64 v[236:237], v[148:149], s[14:15]
	v_mul_f64 v[232:233], v[112:113], s[14:15]
	;; [unrolled: 1-line block ×4, first 2 shown]
	v_add_f64 v[186:187], v[228:229], v[186:187]
	v_mul_f64 v[228:229], v[150:151], s[6:7]
	v_add_f64 v[110:111], v[214:215], v[110:111]
	v_add_f64 v[114:115], v[114:115], -v[204:205]
	v_add_f64 v[116:117], v[2:3], v[116:117]
	v_add_f64 v[208:209], v[210:211], v[208:209]
	v_mul_f64 v[210:211], v[106:107], s[8:9]
	v_add_f64 v[184:185], v[184:185], v[234:235]
	v_add_f64 v[182:183], v[2:3], v[182:183]
	v_add_f64 v[156:157], v[176:177], -v[156:157]
	v_add_f64 v[66:67], v[180:181], -v[124:125]
	v_add_f64 v[226:227], v[236:237], -v[226:227]
	v_mul_f64 v[236:237], v[104:105], s[8:9]
	v_add_f64 v[190:191], v[224:225], v[190:191]
	v_mul_f64 v[224:225], v[108:109], s[8:9]
	v_add_f64 v[152:153], v[2:3], v[152:153]
	v_add_f64 v[2:3], v[2:3], v[90:91]
	v_add_f64 v[46:47], v[230:231], -v[46:47]
	v_add_f64 v[216:217], v[216:217], v[228:229]
	v_mul_f64 v[228:229], v[104:105], s[18:19]
	v_mul_f64 v[214:215], v[108:109], s[18:19]
	;; [unrolled: 1-line block ×4, first 2 shown]
	v_add_f64 v[108:109], v[112:113], -v[200:201]
	v_add_f64 v[112:113], v[0:1], v[114:115]
	v_add_f64 v[110:111], v[110:111], v[116:117]
	v_mul_f64 v[116:117], v[106:107], s[14:15]
	v_add_f64 v[200:201], v[212:213], v[210:211]
	v_mul_f64 v[212:213], v[106:107], s[16:17]
	v_mul_f64 v[106:107], v[128:129], s[18:19]
	v_add_f64 v[176:177], v[184:185], v[182:183]
	v_add_f64 v[138:139], v[138:139], v[218:219]
	v_add_f64 v[92:93], v[222:223], -v[154:155]
	v_add_f64 v[154:155], v[0:1], v[156:157]
	v_add_f64 v[70:71], v[232:233], -v[126:127]
	v_add_f64 v[0:1], v[0:1], v[66:67]
	v_mul_f64 v[114:115], v[102:103], s[14:15]
	v_add_f64 v[64:65], v[84:85], v[224:225]
	v_add_f64 v[2:3], v[86:87], v[2:3]
	v_add_f64 v[48:49], v[236:237], -v[48:49]
	v_add_f64 v[40:41], v[46:47], v[40:41]
	v_mul_f64 v[210:211], v[102:103], s[16:17]
	v_add_f64 v[206:207], v[104:105], -v[206:207]
	v_add_f64 v[108:109], v[108:109], v[112:113]
	v_mul_f64 v[112:113], v[102:103], s[8:9]
	v_add_f64 v[104:105], v[248:249], v[178:179]
	v_mul_f64 v[178:179], v[128:129], s[16:17]
	v_add_f64 v[106:107], v[202:203], v[106:107]
	v_mul_f64 v[202:203], v[128:129], s[8:9]
	v_mul_f64 v[128:129], v[128:129], s[6:7]
	v_add_f64 v[156:157], v[164:165], v[176:177]
	v_add_f64 v[140:141], v[140:141], v[214:215]
	;; [unrolled: 1-line block ×3, first 2 shown]
	v_add_f64 v[62:63], v[228:229], -v[130:131]
	v_add_f64 v[0:1], v[70:71], v[0:1]
	v_add_f64 v[82:83], v[204:205], -v[158:159]
	v_add_f64 v[92:93], v[92:93], v[154:155]
	v_add_f64 v[102:103], v[188:189], v[174:175]
	v_mul_f64 v[174:175], v[122:123], s[16:17]
	v_add_f64 v[110:111], v[208:209], v[110:111]
	v_mul_f64 v[188:189], v[122:123], s[18:19]
	v_add_f64 v[66:67], v[88:89], v[116:117]
	v_add_f64 v[2:3], v[64:65], v[2:3]
	v_add_f64 v[42:43], v[114:115], -v[42:43]
	v_add_f64 v[40:41], v[48:49], v[40:41]
	v_add_f64 v[112:113], v[112:113], -v[196:197]
	v_mul_f64 v[196:197], v[122:123], s[8:9]
	v_add_f64 v[76:77], v[172:173], v[128:129]
	v_add_f64 v[80:81], v[80:81], v[156:157]
	;; [unrolled: 1-line block ×4, first 2 shown]
	v_add_f64 v[46:47], v[210:211], -v[132:133]
	v_add_f64 v[0:1], v[62:63], v[0:1]
	v_mul_f64 v[122:123], v[122:123], s[6:7]
	v_add_f64 v[82:83], v[82:83], v[92:93]
	v_add_f64 v[108:109], v[206:207], v[108:109]
	v_add_f64 v[110:111], v[200:201], v[110:111]
	v_mul_f64 v[200:201], v[148:149], s[18:19]
	v_add_f64 v[188:189], v[188:189], -v[198:199]
	v_mul_f64 v[198:199], v[150:151], s[18:19]
	v_add_f64 v[52:53], v[100:101], v[178:179]
	v_add_f64 v[2:3], v[66:67], v[2:3]
	v_add_f64 v[54:55], v[174:175], -v[98:99]
	v_add_f64 v[38:39], v[42:43], v[40:41]
	v_mul_f64 v[192:193], v[148:149], s[2:3]
	v_mul_f64 v[208:209], v[150:151], s[2:3]
	v_add_f64 v[76:77], v[76:77], v[80:81]
	v_add_f64 v[80:81], v[144:145], v[202:203]
	;; [unrolled: 1-line block ×3, first 2 shown]
	v_add_f64 v[48:49], v[196:197], -v[136:137]
	v_add_f64 v[0:1], v[46:47], v[0:1]
	v_mul_f64 v[206:207], v[148:149], s[6:7]
	v_mul_f64 v[148:149], v[148:149], s[16:17]
	;; [unrolled: 1-line block ×3, first 2 shown]
	v_add_f64 v[74:75], v[122:123], -v[162:163]
	v_add_f64 v[78:79], v[78:79], v[82:83]
	v_add_f64 v[112:113], v[112:113], v[108:109]
	;; [unrolled: 1-line block ×5, first 2 shown]
	v_add_f64 v[46:47], v[200:201], -v[118:119]
	v_add_f64 v[52:53], v[54:55], v[38:39]
	v_add_f64 v[82:83], v[146:147], v[208:209]
	;; [unrolled: 1-line block ×3, first 2 shown]
	v_add_f64 v[40:41], v[192:193], -v[134:135]
	v_add_f64 v[0:1], v[48:49], v[0:1]
	v_add_f64 v[72:73], v[170:171], v[150:151]
	v_add_f64 v[68:69], v[148:149], -v[166:167]
	v_add_f64 v[48:49], v[74:75], v[78:79]
	v_add_f64 v[110:111], v[106:107], v[110:111]
	;; [unrolled: 1-line block ×3, first 2 shown]
	v_add_f64 v[186:187], v[206:207], -v[194:195]
	v_add_f64 v[188:189], v[188:189], v[112:113]
	v_add_f64 v[38:39], v[32:33], v[50:51]
	;; [unrolled: 1-line block ×12, first 2 shown]
	v_mov_b32_e32 v41, 4
	v_mul_u32_u24_e32 v40, 0x820, v59
	v_lshlrev_b32_sdwa v41, v41, v251 dst_sel:DWORD dst_unused:UNUSED_PAD src0_sel:DWORD src1_sel:BYTE_0
	v_add3_u32 v40, 0, v40, v41
	ds_write_b128 v40, v[36:39]
	ds_write_b128 v40, v[32:35] offset:160
	ds_write_b128 v40, v[28:31] offset:320
	;; [unrolled: 1-line block ×12, first 2 shown]
.LBB0_17:
	s_or_b64 exec, exec, s[20:21]
	s_waitcnt lgkmcnt(0)
	s_barrier
	ds_read_b128 v[28:31], v250
	ds_read_b128 v[48:51], v250 offset:4160
	ds_read_b128 v[44:47], v250 offset:8320
	;; [unrolled: 1-line block ×6, first 2 shown]
	s_movk_i32 s2, 0x4e
	v_cmp_gt_u32_e32 vcc, s2, v58
                                        ; implicit-def: $vgpr2_vgpr3
	s_and_saveexec_b64 s[2:3], vcc
	s_cbranch_execz .LBB0_19
; %bb.18:
	ds_read_b128 v[20:23], v250 offset:2912
	ds_read_b128 v[24:27], v250 offset:7072
	;; [unrolled: 1-line block ×7, first 2 shown]
.LBB0_19:
	s_or_b64 exec, exec, s[2:3]
	s_movk_i32 s2, 0x82
	v_add_u32_e32 v59, 0xffffff7e, v58
	v_cmp_gt_u32_e64 s[2:3], s2, v58
	v_cndmask_b32_e64 v59, v59, v58, s[2:3]
	v_mul_i32_i24_e32 v62, 6, v59
	v_mov_b32_e32 v63, 0
	v_lshlrev_b64 v[64:65], 4, v[62:63]
	v_mov_b32_e32 v62, s13
	v_add_co_u32_e64 v88, s[2:3], s12, v64
	v_addc_co_u32_e64 v89, s[2:3], v62, v65, s[2:3]
	global_load_dwordx4 v[64:67], v[88:89], off offset:1920
	global_load_dwordx4 v[68:71], v[88:89], off offset:1936
	;; [unrolled: 1-line block ×6, first 2 shown]
	s_mov_b32 s14, 0x37e14327
	s_mov_b32 s16, 0x36b3c0b5
	s_mov_b32 s20, 0xe976ee23
	s_mov_b32 s15, 0x3fe948f6
	s_mov_b32 s17, 0x3fac98ee
	s_mov_b32 s21, 0xbfe11646
	s_mov_b32 s6, 0x429ad128
	s_mov_b32 s7, 0x3febfeb5
	s_mov_b32 s8, 0xaaaaaaaa
	s_mov_b32 s18, 0x5476071b
	s_mov_b32 s26, 0xb247c609
	s_mov_b32 s9, 0xbff2aaaa
	s_mov_b32 s19, 0x3fe77f67
	s_mov_b32 s25, 0xbfe77f67
	s_mov_b32 s27, 0x3fd5d0dc
	s_mov_b32 s24, s18
	s_mov_b32 s29, 0xbfd5d0dc
	s_mov_b32 s28, s26
	s_mov_b32 s22, 0x37c3f68c
	s_mov_b32 s23, 0x3fdc38aa
	s_movk_i32 s2, 0x81
	v_mov_b32_e32 v62, 0x38e0
	v_cmp_lt_u32_e64 s[2:3], s2, v58
	v_cndmask_b32_e64 v62, 0, v62, s[2:3]
	v_lshlrev_b32_e32 v59, 4, v59
	v_add3_u32 v59, 0, v62, v59
	s_waitcnt vmcnt(0) lgkmcnt(0)
	s_barrier
	v_mul_f64 v[88:89], v[50:51], v[66:67]
	v_mul_f64 v[66:67], v[48:49], v[66:67]
	;; [unrolled: 1-line block ×12, first 2 shown]
	v_fma_f64 v[48:49], v[48:49], v[64:65], -v[88:89]
	v_fma_f64 v[50:51], v[50:51], v[64:65], v[66:67]
	v_fma_f64 v[44:45], v[44:45], v[68:69], -v[90:91]
	v_fma_f64 v[46:47], v[46:47], v[68:69], v[70:71]
	;; [unrolled: 2-line block ×6, first 2 shown]
	v_add_f64 v[64:65], v[48:49], v[52:53]
	v_add_f64 v[66:67], v[50:51], v[54:55]
	v_add_f64 v[48:49], v[48:49], -v[52:53]
	v_add_f64 v[50:51], v[50:51], -v[54:55]
	v_add_f64 v[52:53], v[44:45], v[40:41]
	v_add_f64 v[54:55], v[46:47], v[42:43]
	v_add_f64 v[40:41], v[44:45], -v[40:41]
	v_add_f64 v[42:43], v[46:47], -v[42:43]
	;; [unrolled: 4-line block ×4, first 2 shown]
	v_add_f64 v[64:65], v[64:65], -v[44:45]
	v_add_f64 v[66:67], v[66:67], -v[46:47]
	;; [unrolled: 1-line block ×4, first 2 shown]
	v_add_f64 v[72:73], v[32:33], v[40:41]
	v_add_f64 v[74:75], v[34:35], v[42:43]
	v_add_f64 v[76:77], v[32:33], -v[40:41]
	v_add_f64 v[78:79], v[34:35], -v[42:43]
	v_add_f64 v[36:37], v[44:45], v[36:37]
	v_add_f64 v[38:39], v[46:47], v[38:39]
	v_add_f64 v[40:41], v[40:41], -v[48:49]
	v_add_f64 v[42:43], v[42:43], -v[50:51]
	;; [unrolled: 1-line block ×4, first 2 shown]
	v_add_f64 v[44:45], v[72:73], v[48:49]
	v_add_f64 v[46:47], v[74:75], v[50:51]
	v_mul_f64 v[48:49], v[64:65], s[14:15]
	v_mul_f64 v[50:51], v[66:67], s[14:15]
	;; [unrolled: 1-line block ×6, first 2 shown]
	v_add_f64 v[28:29], v[28:29], v[36:37]
	v_add_f64 v[30:31], v[30:31], v[38:39]
	v_mul_f64 v[76:77], v[40:41], s[6:7]
	v_mul_f64 v[78:79], v[42:43], s[6:7]
	v_fma_f64 v[52:53], v[52:53], s[16:17], v[48:49]
	v_fma_f64 v[54:55], v[54:55], s[16:17], v[50:51]
	v_fma_f64 v[64:65], v[68:69], s[18:19], -v[64:65]
	v_fma_f64 v[66:67], v[70:71], s[18:19], -v[66:67]
	v_fma_f64 v[48:49], v[68:69], s[24:25], -v[48:49]
	v_fma_f64 v[50:51], v[70:71], s[24:25], -v[50:51]
	v_fma_f64 v[68:69], v[32:33], s[26:27], v[72:73]
	v_fma_f64 v[70:71], v[34:35], s[26:27], v[74:75]
	v_fma_f64 v[36:37], v[36:37], s[8:9], v[28:29]
	v_fma_f64 v[38:39], v[38:39], s[8:9], v[30:31]
	v_fma_f64 v[32:33], v[32:33], s[28:29], -v[76:77]
	v_fma_f64 v[34:35], v[34:35], s[28:29], -v[78:79]
	;; [unrolled: 1-line block ×4, first 2 shown]
	v_fma_f64 v[68:69], v[44:45], s[22:23], v[68:69]
	v_fma_f64 v[70:71], v[46:47], s[22:23], v[70:71]
	v_add_f64 v[52:53], v[52:53], v[36:37]
	v_add_f64 v[54:55], v[54:55], v[38:39]
	v_fma_f64 v[76:77], v[44:45], s[22:23], v[32:33]
	v_fma_f64 v[78:79], v[46:47], s[22:23], v[34:35]
	v_add_f64 v[48:49], v[48:49], v[36:37]
	v_add_f64 v[50:51], v[50:51], v[38:39]
	;; [unrolled: 4-line block ×3, first 2 shown]
	v_add_f64 v[32:33], v[70:71], v[52:53]
	v_add_f64 v[34:35], v[54:55], -v[68:69]
	v_add_f64 v[36:37], v[78:79], v[48:49]
	v_add_f64 v[38:39], v[50:51], -v[76:77]
	v_add_f64 v[48:49], v[48:49], -v[78:79]
	v_add_f64 v[50:51], v[76:77], v[50:51]
	v_add_f64 v[40:41], v[44:45], -v[74:75]
	v_add_f64 v[42:43], v[72:73], v[46:47]
	v_add_f64 v[44:45], v[74:75], v[44:45]
	v_add_f64 v[46:47], v[46:47], -v[72:73]
	v_add_f64 v[52:53], v[52:53], -v[70:71]
	v_add_f64 v[54:55], v[68:69], v[54:55]
	ds_write_b128 v59, v[28:31]
	ds_write_b128 v59, v[32:35] offset:2080
	ds_write_b128 v59, v[36:39] offset:4160
	;; [unrolled: 1-line block ×6, first 2 shown]
	s_and_saveexec_b64 s[2:3], vcc
	s_cbranch_execz .LBB0_21
; %bb.20:
	v_add_u32_e32 v28, 0xb6, v58
	s_movk_i32 s30, 0xfc1
	v_mul_u32_u24_sdwa v29, v28, s30 dst_sel:DWORD dst_unused:UNUSED_PAD src0_sel:WORD_0 src1_sel:DWORD
	v_lshrrev_b32_e32 v29, 19, v29
	v_mul_lo_u16_e32 v29, 0x82, v29
	v_sub_u16_e32 v59, v28, v29
	v_mul_u32_u24_e32 v28, 6, v59
	v_lshlrev_b32_e32 v52, 4, v28
	global_load_dwordx4 v[28:31], v52, s[12:13] offset:1968
	global_load_dwordx4 v[32:35], v52, s[12:13] offset:1952
	;; [unrolled: 1-line block ×6, first 2 shown]
	s_waitcnt vmcnt(5)
	v_mul_f64 v[52:53], v[10:11], v[30:31]
	s_waitcnt vmcnt(4)
	v_mul_f64 v[54:55], v[14:15], v[34:35]
	s_waitcnt vmcnt(3)
	v_mul_f64 v[64:65], v[18:19], v[38:39]
	s_waitcnt vmcnt(2)
	v_mul_f64 v[66:67], v[6:7], v[42:43]
	s_waitcnt vmcnt(1)
	v_mul_f64 v[68:69], v[26:27], v[46:47]
	s_waitcnt vmcnt(0)
	v_mul_f64 v[70:71], v[2:3], v[50:51]
	v_mul_f64 v[38:39], v[16:17], v[38:39]
	v_mul_f64 v[42:43], v[4:5], v[42:43]
	;; [unrolled: 1-line block ×6, first 2 shown]
	v_fma_f64 v[16:17], v[16:17], v[36:37], -v[64:65]
	v_fma_f64 v[4:5], v[4:5], v[40:41], -v[66:67]
	;; [unrolled: 1-line block ×4, first 2 shown]
	v_fma_f64 v[18:19], v[18:19], v[36:37], v[38:39]
	v_fma_f64 v[6:7], v[6:7], v[40:41], v[42:43]
	;; [unrolled: 1-line block ×4, first 2 shown]
	v_fma_f64 v[8:9], v[8:9], v[28:29], -v[52:53]
	v_fma_f64 v[12:13], v[12:13], v[32:33], -v[54:55]
	v_fma_f64 v[14:15], v[14:15], v[32:33], v[34:35]
	v_fma_f64 v[10:11], v[10:11], v[28:29], v[30:31]
	v_add_f64 v[30:31], v[16:17], -v[4:5]
	v_add_f64 v[32:33], v[24:25], -v[0:1]
	v_add_f64 v[36:37], v[18:19], v[6:7]
	v_add_f64 v[38:39], v[26:27], v[2:3]
	;; [unrolled: 1-line block ×4, first 2 shown]
	v_add_f64 v[28:29], v[8:9], -v[12:13]
	v_add_f64 v[34:35], v[14:15], v[10:11]
	v_add_f64 v[8:9], v[12:13], v[8:9]
	v_add_f64 v[10:11], v[10:11], -v[14:15]
	v_add_f64 v[6:7], v[18:19], -v[6:7]
	;; [unrolled: 1-line block ×3, first 2 shown]
	v_add_f64 v[26:27], v[36:37], v[38:39]
	v_add_f64 v[42:43], v[4:5], v[0:1]
	;; [unrolled: 1-line block ×3, first 2 shown]
	v_add_f64 v[14:15], v[28:29], -v[30:31]
	v_add_f64 v[16:17], v[32:33], -v[28:29]
	;; [unrolled: 1-line block ×5, first 2 shown]
	v_add_f64 v[44:45], v[10:11], v[6:7]
	v_add_f64 v[46:47], v[10:11], -v[6:7]
	v_add_f64 v[30:31], v[30:31], -v[32:33]
	v_add_f64 v[26:27], v[34:35], v[26:27]
	v_add_f64 v[8:9], v[8:9], v[42:43]
	v_add_f64 v[18:19], v[34:35], -v[36:37]
	v_add_f64 v[6:7], v[6:7], -v[2:3]
	;; [unrolled: 1-line block ×5, first 2 shown]
	v_mul_f64 v[14:15], v[14:15], s[20:21]
	v_mul_f64 v[24:25], v[24:25], s[14:15]
	;; [unrolled: 1-line block ×3, first 2 shown]
	v_add_f64 v[40:41], v[44:45], v[2:3]
	v_mul_f64 v[42:43], v[46:47], s[20:21]
	v_mul_f64 v[44:45], v[30:31], s[6:7]
	v_add_f64 v[2:3], v[22:23], v[26:27]
	v_add_f64 v[0:1], v[20:21], v[8:9]
	;; [unrolled: 1-line block ×3, first 2 shown]
	v_mul_f64 v[32:33], v[18:19], s[16:17]
	v_mul_f64 v[46:47], v[6:7], s[6:7]
	;; [unrolled: 1-line block ×3, first 2 shown]
	v_fma_f64 v[48:49], v[16:17], s[26:27], v[14:15]
	v_fma_f64 v[18:19], v[18:19], s[16:17], v[24:25]
	;; [unrolled: 1-line block ×4, first 2 shown]
	v_fma_f64 v[16:17], v[16:17], s[28:29], -v[44:45]
	v_fma_f64 v[24:25], v[36:37], s[24:25], -v[24:25]
	v_fma_f64 v[26:27], v[26:27], s[8:9], v[2:3]
	v_fma_f64 v[8:9], v[8:9], s[8:9], v[0:1]
	v_fma_f64 v[28:29], v[4:5], s[24:25], -v[38:39]
	v_fma_f64 v[10:11], v[10:11], s[28:29], -v[46:47]
	;; [unrolled: 1-line block ×6, first 2 shown]
	v_fma_f64 v[30:31], v[12:13], s[22:23], v[48:49]
	v_fma_f64 v[34:35], v[40:41], s[22:23], v[20:21]
	;; [unrolled: 1-line block ×3, first 2 shown]
	v_add_f64 v[20:21], v[18:19], v[26:27]
	v_add_f64 v[24:25], v[24:25], v[26:27]
	;; [unrolled: 1-line block ×4, first 2 shown]
	v_fma_f64 v[32:33], v[40:41], s[22:23], v[10:11]
	v_add_f64 v[28:29], v[28:29], v[8:9]
	v_fma_f64 v[12:13], v[12:13], s[22:23], v[14:15]
	v_fma_f64 v[36:37], v[40:41], s[22:23], v[6:7]
	v_add_f64 v[4:5], v[4:5], v[8:9]
	v_add_f64 v[10:11], v[16:17], v[24:25]
	v_add_f64 v[22:23], v[24:25], -v[16:17]
	v_add_f64 v[26:27], v[20:21], -v[30:31]
	v_add_f64 v[24:25], v[34:35], v[38:39]
	v_add_f64 v[6:7], v[30:31], v[20:21]
	;; [unrolled: 1-line block ×3, first 2 shown]
	v_add_f64 v[14:15], v[18:19], -v[12:13]
	v_add_f64 v[18:19], v[12:13], v[18:19]
	v_add_f64 v[16:17], v[4:5], -v[36:37]
	v_add_f64 v[12:13], v[36:37], v[4:5]
	v_add_f64 v[8:9], v[28:29], -v[32:33]
	v_add_f64 v[4:5], v[38:39], -v[34:35]
	v_lshl_add_u32 v28, v59, 4, 0
	ds_write_b128 v28, v[0:3] offset:14560
	ds_write_b128 v28, v[24:27] offset:16640
	;; [unrolled: 1-line block ×7, first 2 shown]
.LBB0_21:
	s_or_b64 exec, exec, s[2:3]
	v_mov_b32_e32 v59, v63
	v_lshlrev_b64 v[8:9], 4, v[58:59]
	v_mov_b32_e32 v0, s13
	v_add_co_u32_e32 v22, vcc, s12, v8
	v_addc_co_u32_e32 v23, vcc, v0, v9, vcc
	s_movk_i32 s2, 0x3000
	v_add_co_u32_e32 v10, vcc, s2, v22
	v_addc_co_u32_e32 v11, vcc, 0, v23, vcc
	s_movk_i32 s2, 0x4000
	;; [unrolled: 3-line block ×4, first 2 shown]
	s_waitcnt lgkmcnt(0)
	s_barrier
	global_load_dwordx4 v[0:3], v[10:11], off offset:2112
	global_load_dwordx4 v[4:7], v[18:19], off offset:928
	s_nop 0
	global_load_dwordx4 v[10:13], v[18:19], off offset:3840
	global_load_dwordx4 v[14:17], v[20:21], off offset:2656
	v_add_co_u32_e32 v18, vcc, s2, v22
	v_addc_co_u32_e32 v19, vcc, 0, v23, vcc
	global_load_dwordx4 v[18:21], v[18:19], off offset:1472
	ds_read_b128 v[22:25], v250
	ds_read_b128 v[26:29], v250 offset:2912
	ds_read_b128 v[30:33], v250 offset:17472
	;; [unrolled: 1-line block ×9, first 2 shown]
	s_waitcnt vmcnt(0) lgkmcnt(0)
	s_barrier
	s_add_u32 s6, s12, 0x7120
	s_addc_u32 s7, s13, 0
	v_cmp_ne_u32_e32 vcc, 0, v58
	v_mul_f64 v[54:55], v[48:49], v[2:3]
	v_mul_f64 v[2:3], v[46:47], v[2:3]
	v_mul_f64 v[70:71], v[32:33], v[6:7]
	v_mul_f64 v[6:7], v[30:31], v[6:7]
	v_mul_f64 v[72:73], v[36:37], v[12:13]
	v_mul_f64 v[12:13], v[34:35], v[12:13]
	v_mul_f64 v[74:75], v[64:65], v[16:17]
	v_mul_f64 v[16:17], v[62:63], v[16:17]
	v_mul_f64 v[76:77], v[68:69], v[20:21]
	v_mul_f64 v[20:21], v[66:67], v[20:21]
	v_fma_f64 v[46:47], v[46:47], v[0:1], -v[54:55]
	v_fma_f64 v[2:3], v[48:49], v[0:1], v[2:3]
	v_fma_f64 v[30:31], v[30:31], v[4:5], -v[70:71]
	v_fma_f64 v[6:7], v[32:33], v[4:5], v[6:7]
	;; [unrolled: 2-line block ×5, first 2 shown]
	v_add_f64 v[0:1], v[22:23], -v[46:47]
	v_add_f64 v[2:3], v[24:25], -v[2:3]
	;; [unrolled: 1-line block ×10, first 2 shown]
	v_fma_f64 v[22:23], v[22:23], 2.0, -v[0:1]
	v_fma_f64 v[24:25], v[24:25], 2.0, -v[2:3]
	;; [unrolled: 1-line block ×10, first 2 shown]
	ds_write_b128 v250, v[0:3] offset:14560
	ds_write_b128 v250, v[4:7] offset:17472
	ds_write_b128 v250, v[10:13] offset:20384
	ds_write_b128 v250, v[14:17] offset:23296
	ds_write_b128 v250, v[18:21] offset:26208
	ds_write_b128 v250, v[22:25]
	ds_write_b128 v250, v[26:29] offset:2912
	ds_write_b128 v250, v[30:33] offset:5824
	;; [unrolled: 1-line block ×4, first 2 shown]
	s_waitcnt lgkmcnt(0)
	s_barrier
	ds_read_b128 v[4:7], v250
	v_lshlrev_b32_e32 v0, 4, v58
	v_sub_u32_e32 v14, 0, v0
                                        ; implicit-def: $vgpr0_vgpr1
                                        ; implicit-def: $vgpr10_vgpr11
                                        ; implicit-def: $vgpr12_vgpr13
	s_and_saveexec_b64 s[2:3], vcc
	s_xor_b64 s[2:3], exec, s[2:3]
	s_cbranch_execz .LBB0_23
; %bb.22:
	v_mov_b32_e32 v1, s7
	v_add_co_u32_e32 v0, vcc, s6, v8
	v_addc_co_u32_e32 v1, vcc, v1, v9, vcc
	global_load_dwordx4 v[15:18], v[0:1], off
	ds_read_b128 v[0:3], v14 offset:29120
	s_waitcnt lgkmcnt(0)
	v_add_f64 v[10:11], v[4:5], -v[0:1]
	v_add_f64 v[12:13], v[6:7], v[2:3]
	v_add_f64 v[2:3], v[6:7], -v[2:3]
	v_add_f64 v[0:1], v[4:5], v[0:1]
	v_mul_f64 v[6:7], v[10:11], 0.5
	v_mul_f64 v[4:5], v[12:13], 0.5
	;; [unrolled: 1-line block ×3, first 2 shown]
	s_waitcnt vmcnt(0)
	v_mul_f64 v[10:11], v[6:7], v[17:18]
	v_fma_f64 v[12:13], v[4:5], v[17:18], v[2:3]
	v_fma_f64 v[2:3], v[4:5], v[17:18], -v[2:3]
	v_fma_f64 v[19:20], v[0:1], 0.5, v[10:11]
	v_fma_f64 v[0:1], v[0:1], 0.5, -v[10:11]
	v_fma_f64 v[12:13], -v[15:16], v[6:7], v[12:13]
	v_fma_f64 v[2:3], -v[15:16], v[6:7], v[2:3]
	v_fma_f64 v[10:11], v[4:5], v[15:16], v[19:20]
	v_fma_f64 v[0:1], -v[4:5], v[15:16], v[0:1]
                                        ; implicit-def: $vgpr4_vgpr5
.LBB0_23:
	s_andn2_saveexec_b64 s[2:3], s[2:3]
	s_cbranch_execz .LBB0_25
; %bb.24:
	s_waitcnt lgkmcnt(0)
	v_add_f64 v[10:11], v[4:5], v[6:7]
	v_add_f64 v[0:1], v[4:5], -v[6:7]
	v_mov_b32_e32 v4, 0
	ds_read_b64 v[2:3], v4 offset:14568
	v_mov_b32_e32 v12, 0
	v_mov_b32_e32 v13, 0
	s_waitcnt lgkmcnt(0)
	v_xor_b32_e32 v3, 0x80000000, v3
	ds_write_b64 v4, v[2:3] offset:14568
	v_mov_b32_e32 v2, v12
	v_mov_b32_e32 v3, v13
.LBB0_25:
	s_or_b64 exec, exec, s[2:3]
	s_waitcnt lgkmcnt(0)
	v_mov_b32_e32 v4, s7
	v_add_co_u32_e32 v19, vcc, s6, v8
	v_addc_co_u32_e32 v20, vcc, v4, v9, vcc
	global_load_dwordx4 v[4:7], v[19:20], off offset:2912
	s_movk_i32 s2, 0x1000
	v_add_co_u32_e32 v8, vcc, s2, v19
	v_addc_co_u32_e32 v9, vcc, 0, v20, vcc
	global_load_dwordx4 v[15:18], v[8:9], off offset:1728
	ds_write2_b64 v250, v[10:11], v[12:13] offset1:1
	ds_write_b128 v14, v[0:3] offset:29120
	ds_read_b128 v[0:3], v250 offset:2912
	ds_read_b128 v[8:11], v14 offset:26208
	s_movk_i32 s2, 0x2000
	v_add_co_u32_e32 v19, vcc, s2, v19
	v_addc_co_u32_e32 v20, vcc, 0, v20, vcc
	s_waitcnt lgkmcnt(0)
	v_add_f64 v[12:13], v[0:1], -v[8:9]
	v_add_f64 v[21:22], v[2:3], v[10:11]
	v_add_f64 v[2:3], v[2:3], -v[10:11]
	v_add_f64 v[0:1], v[0:1], v[8:9]
	v_mul_f64 v[10:11], v[12:13], 0.5
	v_mul_f64 v[12:13], v[21:22], 0.5
	v_mul_f64 v[2:3], v[2:3], 0.5
	s_waitcnt vmcnt(1)
	v_mul_f64 v[8:9], v[10:11], v[6:7]
	v_fma_f64 v[21:22], v[12:13], v[6:7], v[2:3]
	v_fma_f64 v[6:7], v[12:13], v[6:7], -v[2:3]
	v_fma_f64 v[23:24], v[0:1], 0.5, v[8:9]
	v_fma_f64 v[8:9], v[0:1], 0.5, -v[8:9]
	global_load_dwordx4 v[0:3], v[19:20], off offset:544
	v_fma_f64 v[21:22], -v[4:5], v[10:11], v[21:22]
	v_fma_f64 v[6:7], -v[4:5], v[10:11], v[6:7]
	v_fma_f64 v[10:11], v[12:13], v[4:5], v[23:24]
	v_fma_f64 v[4:5], -v[12:13], v[4:5], v[8:9]
	v_add_u32_e32 v8, 0x800, v250
	ds_write2_b64 v8, v[10:11], v[21:22] offset0:108 offset1:109
	ds_write_b128 v14, v[4:7] offset:26208
	ds_read_b128 v[4:7], v250 offset:5824
	ds_read_b128 v[8:11], v14 offset:23296
	s_waitcnt lgkmcnt(0)
	v_add_f64 v[12:13], v[4:5], -v[8:9]
	v_add_f64 v[21:22], v[6:7], v[10:11]
	v_add_f64 v[6:7], v[6:7], -v[10:11]
	v_add_f64 v[4:5], v[4:5], v[8:9]
	v_mul_f64 v[10:11], v[12:13], 0.5
	v_mul_f64 v[12:13], v[21:22], 0.5
	;; [unrolled: 1-line block ×3, first 2 shown]
	s_waitcnt vmcnt(1)
	v_mul_f64 v[8:9], v[10:11], v[17:18]
	v_fma_f64 v[21:22], v[12:13], v[17:18], v[6:7]
	v_fma_f64 v[17:18], v[12:13], v[17:18], -v[6:7]
	v_fma_f64 v[23:24], v[4:5], 0.5, v[8:9]
	v_fma_f64 v[8:9], v[4:5], 0.5, -v[8:9]
	global_load_dwordx4 v[4:7], v[19:20], off offset:3456
	v_fma_f64 v[19:20], -v[15:16], v[10:11], v[21:22]
	v_fma_f64 v[10:11], -v[15:16], v[10:11], v[17:18]
	v_fma_f64 v[17:18], v[12:13], v[15:16], v[23:24]
	v_fma_f64 v[8:9], -v[12:13], v[15:16], v[8:9]
	v_add_u32_e32 v12, 0x1000, v250
	ds_write2_b64 v12, v[17:18], v[19:20] offset0:216 offset1:217
	ds_write_b128 v14, v[8:11] offset:23296
	ds_read_b128 v[8:11], v250 offset:8736
	ds_read_b128 v[15:18], v14 offset:20384
	s_waitcnt lgkmcnt(0)
	v_add_f64 v[12:13], v[8:9], -v[15:16]
	v_add_f64 v[19:20], v[10:11], v[17:18]
	v_add_f64 v[10:11], v[10:11], -v[17:18]
	v_add_f64 v[8:9], v[8:9], v[15:16]
	v_mul_f64 v[12:13], v[12:13], 0.5
	v_mul_f64 v[17:18], v[19:20], 0.5
	;; [unrolled: 1-line block ×3, first 2 shown]
	s_waitcnt vmcnt(1)
	v_mul_f64 v[15:16], v[12:13], v[2:3]
	v_fma_f64 v[19:20], v[17:18], v[2:3], v[10:11]
	v_fma_f64 v[2:3], v[17:18], v[2:3], -v[10:11]
	v_fma_f64 v[10:11], v[8:9], 0.5, v[15:16]
	v_fma_f64 v[8:9], v[8:9], 0.5, -v[15:16]
	v_fma_f64 v[15:16], -v[0:1], v[12:13], v[19:20]
	v_fma_f64 v[2:3], -v[0:1], v[12:13], v[2:3]
	v_fma_f64 v[10:11], v[17:18], v[0:1], v[10:11]
	v_fma_f64 v[0:1], -v[17:18], v[0:1], v[8:9]
	v_add_u32_e32 v8, 0x2000, v250
	ds_write2_b64 v8, v[10:11], v[15:16] offset0:68 offset1:69
	ds_write_b128 v14, v[0:3] offset:20384
	ds_read_b128 v[0:3], v250 offset:11648
	ds_read_b128 v[8:11], v14 offset:17472
	s_waitcnt lgkmcnt(0)
	v_add_f64 v[12:13], v[0:1], -v[8:9]
	v_add_f64 v[15:16], v[2:3], v[10:11]
	v_add_f64 v[2:3], v[2:3], -v[10:11]
	v_add_f64 v[0:1], v[0:1], v[8:9]
	v_mul_f64 v[10:11], v[12:13], 0.5
	v_mul_f64 v[12:13], v[15:16], 0.5
	;; [unrolled: 1-line block ×3, first 2 shown]
	s_waitcnt vmcnt(0)
	v_mul_f64 v[8:9], v[10:11], v[6:7]
	v_fma_f64 v[15:16], v[12:13], v[6:7], v[2:3]
	v_fma_f64 v[2:3], v[12:13], v[6:7], -v[2:3]
	v_fma_f64 v[6:7], v[0:1], 0.5, v[8:9]
	v_fma_f64 v[0:1], v[0:1], 0.5, -v[8:9]
	v_fma_f64 v[8:9], -v[4:5], v[10:11], v[15:16]
	v_fma_f64 v[2:3], -v[4:5], v[10:11], v[2:3]
	v_fma_f64 v[6:7], v[12:13], v[4:5], v[6:7]
	v_fma_f64 v[0:1], -v[12:13], v[4:5], v[0:1]
	v_add_u32_e32 v4, 0x2800, v250
	ds_write2_b64 v4, v[6:7], v[8:9] offset0:176 offset1:177
	ds_write_b128 v14, v[0:3] offset:17472
	s_waitcnt lgkmcnt(0)
	s_barrier
	s_and_saveexec_b64 s[2:3], s[0:1]
	s_cbranch_execz .LBB0_28
; %bb.26:
	v_mul_lo_u32 v2, s5, v60
	v_mul_lo_u32 v3, s4, v61
	v_mad_u64_u32 v[0:1], s[0:1], s4, v60, 0
	v_mov_b32_e32 v6, s11
	v_lshl_add_u32 v12, v58, 4, 0
	v_add3_u32 v1, v1, v3, v2
	v_lshlrev_b64 v[0:1], 4, v[0:1]
	v_mov_b32_e32 v59, 0
	v_add_co_u32_e32 v0, vcc, s10, v0
	v_addc_co_u32_e32 v8, vcc, v6, v1, vcc
	v_lshlrev_b64 v[6:7], 4, v[56:57]
	ds_read_b128 v[2:5], v12
	v_add_co_u32_e32 v1, vcc, v0, v6
	v_addc_co_u32_e32 v0, vcc, v8, v7, vcc
	v_lshlrev_b64 v[6:7], 4, v[58:59]
	s_movk_i32 s0, 0xb5
	v_add_co_u32_e32 v10, vcc, v1, v6
	v_addc_co_u32_e32 v11, vcc, v0, v7, vcc
	ds_read_b128 v[6:9], v12 offset:2912
	s_waitcnt lgkmcnt(1)
	global_store_dwordx4 v[10:11], v[2:5], off
	s_nop 0
	v_add_u32_e32 v2, 0xb6, v58
	v_mov_b32_e32 v3, v59
	v_lshlrev_b64 v[2:3], 4, v[2:3]
	v_add_co_u32_e32 v2, vcc, v1, v2
	v_addc_co_u32_e32 v3, vcc, v0, v3, vcc
	s_waitcnt lgkmcnt(0)
	global_store_dwordx4 v[2:3], v[6:9], off
	ds_read_b128 v[2:5], v12 offset:5824
	v_add_u32_e32 v6, 0x16c, v58
	v_mov_b32_e32 v7, v59
	v_lshlrev_b64 v[6:7], 4, v[6:7]
	v_add_co_u32_e32 v10, vcc, v1, v6
	v_addc_co_u32_e32 v11, vcc, v0, v7, vcc
	ds_read_b128 v[6:9], v12 offset:8736
	s_waitcnt lgkmcnt(1)
	global_store_dwordx4 v[10:11], v[2:5], off
	s_nop 0
	v_add_u32_e32 v2, 0x222, v58
	v_mov_b32_e32 v3, v59
	v_lshlrev_b64 v[2:3], 4, v[2:3]
	v_add_co_u32_e32 v2, vcc, v1, v2
	v_addc_co_u32_e32 v3, vcc, v0, v3, vcc
	s_waitcnt lgkmcnt(0)
	global_store_dwordx4 v[2:3], v[6:9], off
	ds_read_b128 v[2:5], v12 offset:11648
	v_add_u32_e32 v6, 0x2d8, v58
	v_mov_b32_e32 v7, v59
	v_lshlrev_b64 v[6:7], 4, v[6:7]
	;; [unrolled: 17-line block ×4, first 2 shown]
	v_add_co_u32_e32 v10, vcc, v1, v6
	v_addc_co_u32_e32 v11, vcc, v0, v7, vcc
	ds_read_b128 v[6:9], v12 offset:26208
	s_waitcnt lgkmcnt(1)
	global_store_dwordx4 v[10:11], v[2:5], off
	s_nop 0
	v_add_u32_e32 v2, 0x666, v58
	v_mov_b32_e32 v3, v59
	v_lshlrev_b64 v[2:3], 4, v[2:3]
	v_add_co_u32_e32 v2, vcc, v1, v2
	v_addc_co_u32_e32 v3, vcc, v0, v3, vcc
	v_cmp_eq_u32_e32 vcc, s0, v58
	s_waitcnt lgkmcnt(0)
	global_store_dwordx4 v[2:3], v[6:9], off
	s_and_b64 exec, exec, vcc
	s_cbranch_execz .LBB0_28
; %bb.27:
	ds_read_b128 v[2:5], v59 offset:29120
	v_add_co_u32_e32 v6, vcc, 0x7000, v1
	v_addc_co_u32_e32 v7, vcc, 0, v0, vcc
	s_waitcnt lgkmcnt(0)
	global_store_dwordx4 v[6:7], v[2:5], off offset:448
.LBB0_28:
	s_endpgm
	.section	.rodata,"a",@progbits
	.p2align	6, 0x0
	.amdhsa_kernel fft_rtc_fwd_len1820_factors_10_13_7_2_wgs_182_tpt_182_halfLds_dp_op_CI_CI_unitstride_sbrr_R2C_dirReg
		.amdhsa_group_segment_fixed_size 0
		.amdhsa_private_segment_fixed_size 0
		.amdhsa_kernarg_size 104
		.amdhsa_user_sgpr_count 6
		.amdhsa_user_sgpr_private_segment_buffer 1
		.amdhsa_user_sgpr_dispatch_ptr 0
		.amdhsa_user_sgpr_queue_ptr 0
		.amdhsa_user_sgpr_kernarg_segment_ptr 1
		.amdhsa_user_sgpr_dispatch_id 0
		.amdhsa_user_sgpr_flat_scratch_init 0
		.amdhsa_user_sgpr_private_segment_size 0
		.amdhsa_uses_dynamic_stack 0
		.amdhsa_system_sgpr_private_segment_wavefront_offset 0
		.amdhsa_system_sgpr_workgroup_id_x 1
		.amdhsa_system_sgpr_workgroup_id_y 0
		.amdhsa_system_sgpr_workgroup_id_z 0
		.amdhsa_system_sgpr_workgroup_info 0
		.amdhsa_system_vgpr_workitem_id 0
		.amdhsa_next_free_vgpr 256
		.amdhsa_next_free_sgpr 40
		.amdhsa_reserve_vcc 1
		.amdhsa_reserve_flat_scratch 0
		.amdhsa_float_round_mode_32 0
		.amdhsa_float_round_mode_16_64 0
		.amdhsa_float_denorm_mode_32 3
		.amdhsa_float_denorm_mode_16_64 3
		.amdhsa_dx10_clamp 1
		.amdhsa_ieee_mode 1
		.amdhsa_fp16_overflow 0
		.amdhsa_exception_fp_ieee_invalid_op 0
		.amdhsa_exception_fp_denorm_src 0
		.amdhsa_exception_fp_ieee_div_zero 0
		.amdhsa_exception_fp_ieee_overflow 0
		.amdhsa_exception_fp_ieee_underflow 0
		.amdhsa_exception_fp_ieee_inexact 0
		.amdhsa_exception_int_div_zero 0
	.end_amdhsa_kernel
	.text
.Lfunc_end0:
	.size	fft_rtc_fwd_len1820_factors_10_13_7_2_wgs_182_tpt_182_halfLds_dp_op_CI_CI_unitstride_sbrr_R2C_dirReg, .Lfunc_end0-fft_rtc_fwd_len1820_factors_10_13_7_2_wgs_182_tpt_182_halfLds_dp_op_CI_CI_unitstride_sbrr_R2C_dirReg
                                        ; -- End function
	.section	.AMDGPU.csdata,"",@progbits
; Kernel info:
; codeLenInByte = 12676
; NumSgprs: 44
; NumVgprs: 256
; ScratchSize: 0
; MemoryBound: 0
; FloatMode: 240
; IeeeMode: 1
; LDSByteSize: 0 bytes/workgroup (compile time only)
; SGPRBlocks: 5
; VGPRBlocks: 63
; NumSGPRsForWavesPerEU: 44
; NumVGPRsForWavesPerEU: 256
; Occupancy: 1
; WaveLimiterHint : 1
; COMPUTE_PGM_RSRC2:SCRATCH_EN: 0
; COMPUTE_PGM_RSRC2:USER_SGPR: 6
; COMPUTE_PGM_RSRC2:TRAP_HANDLER: 0
; COMPUTE_PGM_RSRC2:TGID_X_EN: 1
; COMPUTE_PGM_RSRC2:TGID_Y_EN: 0
; COMPUTE_PGM_RSRC2:TGID_Z_EN: 0
; COMPUTE_PGM_RSRC2:TIDIG_COMP_CNT: 0
	.type	__hip_cuid_81ca39a6ce93ad47,@object ; @__hip_cuid_81ca39a6ce93ad47
	.section	.bss,"aw",@nobits
	.globl	__hip_cuid_81ca39a6ce93ad47
__hip_cuid_81ca39a6ce93ad47:
	.byte	0                               ; 0x0
	.size	__hip_cuid_81ca39a6ce93ad47, 1

	.ident	"AMD clang version 19.0.0git (https://github.com/RadeonOpenCompute/llvm-project roc-6.4.0 25133 c7fe45cf4b819c5991fe208aaa96edf142730f1d)"
	.section	".note.GNU-stack","",@progbits
	.addrsig
	.addrsig_sym __hip_cuid_81ca39a6ce93ad47
	.amdgpu_metadata
---
amdhsa.kernels:
  - .args:
      - .actual_access:  read_only
        .address_space:  global
        .offset:         0
        .size:           8
        .value_kind:     global_buffer
      - .offset:         8
        .size:           8
        .value_kind:     by_value
      - .actual_access:  read_only
        .address_space:  global
        .offset:         16
        .size:           8
        .value_kind:     global_buffer
      - .actual_access:  read_only
        .address_space:  global
        .offset:         24
        .size:           8
        .value_kind:     global_buffer
      - .actual_access:  read_only
        .address_space:  global
        .offset:         32
        .size:           8
        .value_kind:     global_buffer
      - .offset:         40
        .size:           8
        .value_kind:     by_value
      - .actual_access:  read_only
        .address_space:  global
        .offset:         48
        .size:           8
        .value_kind:     global_buffer
      - .actual_access:  read_only
        .address_space:  global
        .offset:         56
        .size:           8
        .value_kind:     global_buffer
      - .offset:         64
        .size:           4
        .value_kind:     by_value
      - .actual_access:  read_only
        .address_space:  global
        .offset:         72
        .size:           8
        .value_kind:     global_buffer
      - .actual_access:  read_only
        .address_space:  global
        .offset:         80
        .size:           8
        .value_kind:     global_buffer
      - .actual_access:  read_only
        .address_space:  global
        .offset:         88
        .size:           8
        .value_kind:     global_buffer
      - .actual_access:  write_only
        .address_space:  global
        .offset:         96
        .size:           8
        .value_kind:     global_buffer
    .group_segment_fixed_size: 0
    .kernarg_segment_align: 8
    .kernarg_segment_size: 104
    .language:       OpenCL C
    .language_version:
      - 2
      - 0
    .max_flat_workgroup_size: 182
    .name:           fft_rtc_fwd_len1820_factors_10_13_7_2_wgs_182_tpt_182_halfLds_dp_op_CI_CI_unitstride_sbrr_R2C_dirReg
    .private_segment_fixed_size: 0
    .sgpr_count:     44
    .sgpr_spill_count: 0
    .symbol:         fft_rtc_fwd_len1820_factors_10_13_7_2_wgs_182_tpt_182_halfLds_dp_op_CI_CI_unitstride_sbrr_R2C_dirReg.kd
    .uniform_work_group_size: 1
    .uses_dynamic_stack: false
    .vgpr_count:     256
    .vgpr_spill_count: 0
    .wavefront_size: 64
amdhsa.target:   amdgcn-amd-amdhsa--gfx906
amdhsa.version:
  - 1
  - 2
...

	.end_amdgpu_metadata
